;; amdgpu-corpus repo=ROCm/rocFFT kind=compiled arch=gfx1201 opt=O3
	.text
	.amdgcn_target "amdgcn-amd-amdhsa--gfx1201"
	.amdhsa_code_object_version 6
	.protected	bluestein_single_fwd_len2430_dim1_half_op_CI_CI ; -- Begin function bluestein_single_fwd_len2430_dim1_half_op_CI_CI
	.globl	bluestein_single_fwd_len2430_dim1_half_op_CI_CI
	.p2align	8
	.type	bluestein_single_fwd_len2430_dim1_half_op_CI_CI,@function
bluestein_single_fwd_len2430_dim1_half_op_CI_CI: ; @bluestein_single_fwd_len2430_dim1_half_op_CI_CI
; %bb.0:
	s_load_b128 s[16:19], s[0:1], 0x28
	v_mul_u32_u24_e32 v1, 0x32a, v0
	s_mov_b32 s2, exec_lo
	v_mov_b32_e32 v3, 0
	s_delay_alu instid0(VALU_DEP_2) | instskip(NEXT) | instid1(VALU_DEP_1)
	v_lshrrev_b32_e32 v1, 16, v1
	v_add_nc_u32_e32 v2, ttmp9, v1
	s_wait_kmcnt 0x0
	s_delay_alu instid0(VALU_DEP_1)
	v_cmpx_gt_u64_e64 s[16:17], v[2:3]
	s_cbranch_execz .LBB0_2
; %bb.1:
	s_clause 0x1
	s_load_b128 s[8:11], s[0:1], 0x18
	s_load_b128 s[4:7], s[0:1], 0x0
	v_mul_lo_u16 v1, 0x51, v1
	v_mov_b32_e32 v4, v2
	s_load_b64 s[0:1], s[0:1], 0x38
	s_delay_alu instid0(VALU_DEP_2)
	v_sub_nc_u16 v84, v0, v1
	scratch_store_b64 off, v[4:5], off offset:216 ; 8-byte Folded Spill
	v_and_b32_e32 v174, 0xffff, v84
	s_wait_kmcnt 0x0
	s_load_b128 s[12:15], s[8:9], 0x0
	s_wait_kmcnt 0x0
	v_mad_co_u64_u32 v[0:1], null, s14, v2, 0
	v_mad_co_u64_u32 v[2:3], null, s12, v174, 0
	s_mul_u64 s[2:3], s[12:13], 0x3cc
	s_mul_i32 s8, s13, 0xffffdf18
	s_delay_alu instid0(SALU_CYCLE_1) | instskip(NEXT) | instid1(VALU_DEP_1)
	s_sub_co_i32 s8, s8, s12
	v_mad_co_u64_u32 v[4:5], null, s15, v4, v[1:2]
	s_delay_alu instid0(VALU_DEP_1) | instskip(NEXT) | instid1(VALU_DEP_3)
	v_mov_b32_e32 v1, v4
	v_mad_co_u64_u32 v[5:6], null, s13, v174, v[3:4]
	v_lshlrev_b32_e32 v171, 2, v174
	v_add_co_u32 v93, null, 0x144, v174
	s_delay_alu instid0(VALU_DEP_4)
	v_lshlrev_b64_e32 v[0:1], 2, v[0:1]
	v_add_co_u32 v92, null, 0x195, v174
	v_mov_b32_e32 v3, v5
	s_clause 0x1
	global_load_b32 v27, v171, s[4:5]
	global_load_b32 v26, v171, s[4:5] offset:972
	v_add_co_u32 v0, vcc_lo, s18, v0
	v_lshlrev_b64_e32 v[2:3], 2, v[2:3]
	v_add_co_ci_u32_e32 v1, vcc_lo, s19, v1, vcc_lo
	v_add_co_u32 v91, null, 0x1e6, v174
	v_add_co_u32 v99, null, 0x288, v174
	s_delay_alu instid0(VALU_DEP_4)
	v_add_co_u32 v0, vcc_lo, v0, v2
	s_wait_alu 0xfffd
	v_add_co_ci_u32_e32 v1, vcc_lo, v1, v3, vcc_lo
	v_add_co_u32 v90, null, 0x237, v174
	v_add_co_u32 v98, null, 0x2d9, v174
	global_load_b32 v11, v[0:1], off
	v_add_co_u32 v0, vcc_lo, v0, s2
	s_wait_alu 0xfffd
	v_add_co_ci_u32_e32 v1, vcc_lo, s3, v1, vcc_lo
	s_delay_alu instid0(VALU_DEP_2) | instskip(SKIP_1) | instid1(VALU_DEP_2)
	v_add_co_u32 v2, vcc_lo, v0, s2
	s_wait_alu 0xfffd
	v_add_co_ci_u32_e32 v3, vcc_lo, s3, v1, vcc_lo
	global_load_b32 v12, v[0:1], off
	global_load_b32 v17, v171, s[4:5] offset:1944
	global_load_b32 v10, v[2:3], off
	v_add_co_u32 v0, vcc_lo, v2, s2
	s_wait_alu 0xfffd
	v_add_co_ci_u32_e32 v1, vcc_lo, s3, v3, vcc_lo
	global_load_b32 v22, v171, s[4:5] offset:2916
	global_load_b32 v9, v[0:1], off
	v_add_co_u32 v2, vcc_lo, v0, s2
	s_wait_alu 0xfffd
	v_add_co_ci_u32_e32 v3, vcc_lo, s3, v1, vcc_lo
	global_load_b32 v21, v171, s[4:5] offset:3888
	global_load_b32 v1, v[2:3], off
	v_add_co_u32 v2, vcc_lo, v2, s2
	s_wait_alu 0xfffd
	v_add_co_ci_u32_e32 v3, vcc_lo, s3, v3, vcc_lo
	global_load_b32 v20, v171, s[4:5] offset:4860
	global_load_b32 v8, v[2:3], off
	v_add_co_u32 v2, vcc_lo, v2, s2
	s_wait_alu 0xfffd
	v_add_co_ci_u32_e32 v3, vcc_lo, s3, v3, vcc_lo
	global_load_b32 v19, v171, s[4:5] offset:5832
	global_load_b32 v0, v[2:3], off
	v_add_co_u32 v2, vcc_lo, v2, s2
	s_wait_alu 0xfffd
	v_add_co_ci_u32_e32 v3, vcc_lo, s3, v3, vcc_lo
	global_load_b32 v18, v171, s[4:5] offset:324
	v_add_co_u32 v4, vcc_lo, v2, s2
	s_wait_alu 0xfffd
	v_add_co_ci_u32_e32 v5, vcc_lo, s3, v3, vcc_lo
	s_clause 0x2
	global_load_b32 v34, v171, s[4:5] offset:1296
	global_load_b32 v42, v171, s[4:5] offset:2268
	;; [unrolled: 1-line block ×3, first 2 shown]
	v_add_co_u32 v6, vcc_lo, v4, s2
	s_wait_alu 0xfffd
	v_add_co_ci_u32_e32 v7, vcc_lo, s3, v5, vcc_lo
	s_clause 0x4
	global_load_b32 v39, v171, s[4:5] offset:3240
	global_load_b32 v41, v171, s[4:5] offset:4212
	global_load_b32 v30, v171, s[4:5] offset:4536
	global_load_b32 v31, v171, s[4:5] offset:3564
	global_load_b32 v32, v171, s[4:5] offset:2592
	v_mad_co_u64_u32 v[13:14], null, 0xffffdf18, s12, v[6:7]
	s_delay_alu instid0(VALU_DEP_1)
	v_add_nc_u32_e32 v14, s8, v14
	global_load_b32 v37, v171, s[4:5] offset:648
	global_load_b32 v15, v[2:3], off
	global_load_b32 v4, v[4:5], off
	global_load_b32 v5, v[6:7], off
	global_load_b32 v6, v[13:14], off
	v_add_co_u32 v2, vcc_lo, v13, s2
	global_load_b32 v40, v171, s[4:5] offset:6156
	s_wait_loadcnt 0x1c
	v_lshrrev_b32_e32 v25, 16, v27
	s_wait_loadcnt 0x1b
	v_lshrrev_b32_e32 v29, 16, v26
	s_clause 0x1
	scratch_store_b32 off, v27, off offset:244
	scratch_store_b32 off, v25, off offset:240
	s_wait_loadcnt 0x1a
	v_lshrrev_b32_e32 v7, 16, v11
	v_mul_f16_e32 v13, v25, v11
	s_delay_alu instid0(VALU_DEP_2) | instskip(NEXT) | instid1(VALU_DEP_2)
	v_mul_f16_e32 v16, v25, v7
	v_fma_f16 v7, v27, v7, -v13
	s_wait_loadcnt 0x18
	v_mov_b32_e32 v25, v17
	s_wait_alu 0xfffd
	v_add_co_ci_u32_e32 v3, vcc_lo, s3, v14, vcc_lo
	v_lshrrev_b32_e32 v14, 16, v12
	v_mul_f16_e32 v17, v29, v12
	v_lshrrev_b32_e32 v28, 16, v25
	s_clause 0x2
	scratch_store_b32 off, v26, off offset:236
	scratch_store_b32 off, v29, off offset:232
	;; [unrolled: 1-line block ×3, first 2 shown]
	v_mul_f16_e32 v13, v29, v14
	scratch_store_b32 off, v28, off offset:224 ; 4-byte Folded Spill
	v_fmac_f16_e32 v16, v27, v11
	s_wait_loadcnt 0x17
	v_lshrrev_b32_e32 v11, 16, v10
	v_fma_f16 v14, v26, v14, -v17
	v_mul_f16_e32 v17, v28, v10
	s_wait_loadcnt 0x16
	v_lshrrev_b32_e32 v27, 16, v22
	v_fmac_f16_e32 v13, v26, v12
	v_pack_b32_f16 v7, v16, v7
	v_mul_f16_e32 v12, v28, v11
	s_wait_loadcnt 0x15
	v_lshrrev_b32_e32 v16, 16, v9
	v_fma_f16 v11, v25, v11, -v17
	v_mul_f16_e32 v17, v27, v9
	v_pack_b32_f16 v13, v13, v14
	s_wait_loadcnt 0x14
	v_lshrrev_b32_e32 v26, 16, v21
	v_fmac_f16_e32 v12, v25, v10
	v_mul_f16_e32 v14, v27, v16
	v_fma_f16 v10, v22, v16, -v17
	s_wait_loadcnt 0x13
	v_lshrrev_b32_e32 v16, 16, v1
	s_wait_loadcnt 0x12
	v_lshrrev_b32_e32 v17, 16, v20
	v_pack_b32_f16 v11, v12, v11
	ds_store_b32 v171, v13 offset:972
	v_mul_f16_e32 v13, v26, v1
	v_fmac_f16_e32 v14, v22, v9
	s_wait_loadcnt 0x11
	v_lshrrev_b32_e32 v12, 16, v8
	s_delay_alu instid0(VALU_DEP_3)
	v_fma_f16 v9, v21, v16, -v13
	v_mul_f16_e32 v13, v26, v16
	v_pack_b32_f16 v10, v14, v10
	ds_store_b32 v171, v11 offset:1944
	v_mul_f16_e32 v11, v17, v8
	v_mul_f16_e32 v14, v17, v12
	v_fmac_f16_e32 v13, v21, v1
	s_wait_loadcnt 0xd
	v_lshrrev_b32_e32 v36, 16, v34
	v_fma_f16 v1, v20, v12, -v11
	v_lshrrev_b32_e32 v11, 16, v19
	s_clause 0x5
	scratch_store_b32 off, v22, off offset:212
	scratch_store_b32 off, v27, off offset:208
	;; [unrolled: 1-line block ×6, first 2 shown]
	s_clause 0x1
	global_load_b32 v35, v171, s[4:5] offset:7128
	global_load_b32 v27, v171, s[4:5] offset:7452
	scratch_store_b32 off, v11, off offset:188 ; 4-byte Folded Spill
	s_clause 0x1
	global_load_b32 v28, v171, s[4:5] offset:6480
	global_load_b32 v12, v171, s[4:5] offset:6804
	v_fmac_f16_e32 v14, v20, v8
	ds_store_b32 v171, v10 offset:2916
	v_pack_b32_f16 v8, v13, v9
	v_lshrrev_b32_e32 v9, 16, v0
	v_mul_f16_e32 v10, v11, v0
	v_pack_b32_f16 v1, v14, v1
	s_clause 0x1
	global_load_b32 v14, v171, s[4:5] offset:7776
	global_load_b32 v29, v171, s[4:5] offset:5508
	v_fma_f16 v10, v19, v9, -v10
	v_mul_f16_e32 v9, v11, v9
	s_delay_alu instid0(VALU_DEP_1) | instskip(SKIP_4) | instid1(VALU_DEP_1)
	v_fmac_f16_e32 v9, v19, v0
	s_wait_loadcnt 0xa
	v_lshrrev_b32_e32 v0, 16, v15
	s_wait_loadcnt 0x2
	v_lshrrev_b32_e32 v13, 16, v12
	v_mul_f16_e32 v11, v13, v15
	scratch_store_b32 off, v13, off offset:180 ; 4-byte Folded Spill
	v_fma_f16 v11, v12, v0, -v11
	v_mul_f16_e32 v0, v13, v0
	s_delay_alu instid0(VALU_DEP_1)
	v_fmac_f16_e32 v0, v12, v15
	s_wait_loadcnt 0x1
	v_lshrrev_b32_e32 v15, 16, v14
	s_clause 0x2
	scratch_store_b32 off, v14, off offset:168
	scratch_store_b32 off, v12, off offset:176
	;; [unrolled: 1-line block ×3, first 2 shown]
	v_lshrrev_b32_e32 v12, 16, v4
	v_mul_f16_e32 v13, v15, v4
	s_clause 0x3
	global_load_b32 v38, v171, s[4:5] offset:8100
	global_load_b32 v33, v171, s[4:5] offset:9072
	global_load_b32 v25, v171, s[4:5] offset:9396
	global_load_b32 v26, v171, s[4:5] offset:8424
	scratch_store_b32 off, v15, off offset:172 ; 4-byte Folded Spill
	v_pack_b32_f16 v0, v0, v11
	scratch_store_b32 off, v18, off offset:160 ; 4-byte Folded Spill
	v_fma_f16 v13, v14, v12, -v13
	v_mul_f16_e32 v12, v15, v12
	global_load_b32 v15, v171, s[4:5] offset:8748
	v_fmac_f16_e32 v12, v14, v4
	v_lshrrev_b32_e32 v4, 16, v5
	s_wait_loadcnt 0x0
	v_lshrrev_b32_e32 v16, 16, v15
	s_clause 0x1
	scratch_store_b32 off, v15, off offset:152
	scratch_store_b32 off, v16, off offset:156
	v_mul_f16_e32 v14, v16, v5
	s_delay_alu instid0(VALU_DEP_1) | instskip(SKIP_2) | instid1(VALU_DEP_2)
	v_fma_f16 v14, v15, v4, -v14
	v_mul_f16_e32 v4, v16, v4
	v_lshrrev_b32_e32 v16, 16, v18
	v_fmac_f16_e32 v4, v15, v5
	v_lshrrev_b32_e32 v5, 16, v6
	s_delay_alu instid0(VALU_DEP_3) | instskip(SKIP_4) | instid1(VALU_DEP_1)
	v_mul_f16_e32 v15, v16, v6
	scratch_store_b32 off, v16, off offset:164 ; 4-byte Folded Spill
	v_pack_b32_f16 v4, v4, v14
	v_fma_f16 v15, v18, v5, -v15
	v_mul_f16_e32 v5, v16, v5
	v_fmac_f16_e32 v5, v18, v6
	v_pack_b32_f16 v6, v9, v10
	v_pack_b32_f16 v9, v12, v13
	s_delay_alu instid0(VALU_DEP_3)
	v_pack_b32_f16 v5, v5, v15
	ds_store_b32 v171, v8 offset:3888
	ds_store_b32 v171, v1 offset:4860
	;; [unrolled: 1-line block ×6, first 2 shown]
	ds_store_2addr_b32 v171, v7, v5 offset1:81
	v_add_co_u32 v0, vcc_lo, v2, s2
	s_wait_alu 0xfffd
	v_add_co_ci_u32_e32 v1, vcc_lo, s3, v3, vcc_lo
	global_load_b32 v22, v[2:3], off
	v_add_co_u32 v2, vcc_lo, v0, s2
	s_wait_alu 0xfffd
	v_add_co_ci_u32_e32 v3, vcc_lo, s3, v1, vcc_lo
	s_clause 0x1
	scratch_store_b32 off, v34, off offset:136
	scratch_store_b32 off, v36, off offset:140
	v_add_co_u32 v4, vcc_lo, v2, s2
	s_wait_alu 0xfffd
	v_add_co_ci_u32_e32 v5, vcc_lo, s3, v3, vcc_lo
	s_delay_alu instid0(VALU_DEP_2) | instskip(SKIP_1) | instid1(VALU_DEP_2)
	v_add_co_u32 v6, vcc_lo, v4, s2
	s_wait_alu 0xfffd
	v_add_co_ci_u32_e32 v7, vcc_lo, s3, v5, vcc_lo
	global_load_b32 v4, v[4:5], off
	v_add_co_u32 v8, vcc_lo, v6, s2
	s_wait_alu 0xfffd
	v_add_co_ci_u32_e32 v9, vcc_lo, s3, v7, vcc_lo
	s_delay_alu instid0(VALU_DEP_2) | instskip(SKIP_1) | instid1(VALU_DEP_2)
	v_add_co_u32 v10, vcc_lo, v8, s2
	s_wait_alu 0xfffd
	v_add_co_ci_u32_e32 v11, vcc_lo, s3, v9, vcc_lo
	s_delay_alu instid0(VALU_DEP_2) | instskip(SKIP_1) | instid1(VALU_DEP_2)
	;; [unrolled: 4-line block ×3, first 2 shown]
	v_add_co_u32 v14, vcc_lo, v12, s2
	s_wait_alu 0xfffd
	v_add_co_ci_u32_e32 v15, vcc_lo, s3, v13, vcc_lo
	s_delay_alu instid0(VALU_DEP_1) | instskip(NEXT) | instid1(VALU_DEP_1)
	v_mad_co_u64_u32 v[16:17], null, 0xffffdf18, s12, v[14:15]
	v_add_nc_u32_e32 v17, s8, v17
	s_delay_alu instid0(VALU_DEP_2) | instskip(SKIP_1) | instid1(VALU_DEP_2)
	v_add_co_u32 v18, vcc_lo, v16, s2
	s_wait_alu 0xfffd
	v_add_co_ci_u32_e32 v19, vcc_lo, s3, v17, vcc_lo
	s_delay_alu instid0(VALU_DEP_2)
	v_add_co_u32 v20, vcc_lo, v18, s2
	global_load_b32 v18, v[18:19], off
	s_wait_alu 0xfffd
	v_add_co_ci_u32_e32 v21, vcc_lo, s3, v19, vcc_lo
	s_wait_loadcnt 0x2
	v_lshrrev_b32_e32 v19, 16, v22
	v_mul_f16_e32 v23, v36, v22
	s_delay_alu instid0(VALU_DEP_1) | instskip(SKIP_1) | instid1(VALU_DEP_1)
	v_fma_f16 v23, v34, v19, -v23
	v_mul_f16_e32 v19, v36, v19
	v_fmac_f16_e32 v19, v34, v22
	v_mov_b32_e32 v34, v24
	v_add_nc_u32_e32 v150, 0x400, v171
	v_add_nc_u32_e32 v176, 0x800, v171
	;; [unrolled: 1-line block ×4, first 2 shown]
	v_lshrrev_b32_e32 v36, 16, v34
	v_add_nc_u32_e32 v144, 0x1400, v171
	v_add_nc_u32_e32 v166, 0x1800, v171
	;; [unrolled: 1-line block ×7, first 2 shown]
	scratch_store_b32 off, v36, off offset:68 ; 4-byte Folded Spill
	s_wait_loadcnt 0x0
	v_lshrrev_b32_e32 v22, 16, v18
	v_mul_f16_e32 v24, v36, v18
	s_delay_alu instid0(VALU_DEP_1) | instskip(SKIP_1) | instid1(VALU_DEP_1)
	v_fma_f16 v24, v34, v22, -v24
	v_mul_f16_e32 v22, v36, v22
	v_fmac_f16_e32 v22, v34, v18
	v_pack_b32_f16 v18, v19, v23
	v_lshrrev_b32_e32 v23, 16, v32
	s_delay_alu instid0(VALU_DEP_3)
	v_pack_b32_f16 v19, v22, v24
	v_lshrrev_b32_e32 v22, 16, v42
	s_clause 0x1
	scratch_store_b32 off, v42, off offset:144
	scratch_store_b32 off, v23, off offset:60
	ds_store_2addr_b32 v150, v18, v19 offset0:68 offset1:149
	scratch_store_b32 off, v22, off offset:148 ; 4-byte Folded Spill
	global_load_b32 v18, v[0:1], off
	global_load_b32 v19, v[20:21], off
	v_add_co_u32 v0, vcc_lo, v20, s2
	s_wait_alu 0xfffd
	v_add_co_ci_u32_e32 v1, vcc_lo, s3, v21, vcc_lo
	s_wait_loadcnt 0x1
	v_lshrrev_b32_e32 v20, 16, v18
	v_mul_f16_e32 v21, v22, v18
	s_delay_alu instid0(VALU_DEP_1) | instskip(SKIP_3) | instid1(VALU_DEP_2)
	v_fma_f16 v21, v42, v20, -v21
	v_mul_f16_e32 v20, v22, v20
	s_wait_loadcnt 0x0
	v_mul_f16_e32 v22, v23, v19
	v_fmac_f16_e32 v20, v42, v18
	v_lshrrev_b32_e32 v18, 16, v19
	s_delay_alu instid0(VALU_DEP_1) | instskip(SKIP_1) | instid1(VALU_DEP_1)
	v_fma_f16 v22, v32, v18, -v22
	v_mul_f16_e32 v18, v23, v18
	v_fmac_f16_e32 v18, v32, v19
	v_pack_b32_f16 v19, v20, v21
	v_lshrrev_b32_e32 v20, 16, v39
	v_lshrrev_b32_e32 v21, 16, v31
	scratch_store_b32 off, v39, off offset:120 ; 4-byte Folded Spill
	v_pack_b32_f16 v18, v18, v22
	s_clause 0x1
	scratch_store_b32 off, v20, off offset:124
	scratch_store_b32 off, v21, off offset:52
	ds_store_2addr_b32 v176, v19, v18 offset0:55 offset1:136
	global_load_b32 v18, v[2:3], off
	v_add_co_u32 v2, vcc_lo, v0, s2
	global_load_b32 v0, v[0:1], off
	s_wait_alu 0xfffd
	v_add_co_ci_u32_e32 v3, vcc_lo, s3, v1, vcc_lo
	s_wait_loadcnt 0x1
	v_lshrrev_b32_e32 v1, 16, v18
	v_mul_f16_e32 v19, v20, v18
	s_delay_alu instid0(VALU_DEP_1) | instskip(SKIP_3) | instid1(VALU_DEP_2)
	v_fma_f16 v19, v39, v1, -v19
	v_mul_f16_e32 v1, v20, v1
	s_wait_loadcnt 0x0
	v_mul_f16_e32 v20, v21, v0
	v_fmac_f16_e32 v1, v39, v18
	v_lshrrev_b32_e32 v18, 16, v0
	s_delay_alu instid0(VALU_DEP_1) | instskip(SKIP_1) | instid1(VALU_DEP_1)
	v_fma_f16 v20, v31, v18, -v20
	v_mul_f16_e32 v18, v21, v18
	v_fmac_f16_e32 v18, v31, v0
	v_pack_b32_f16 v0, v1, v19
	v_lshrrev_b32_e32 v19, 16, v30
	s_clause 0x1
	scratch_store_b32 off, v30, off offset:40
	scratch_store_b32 off, v31, off offset:48
	v_pack_b32_f16 v1, v18, v20
	v_lshrrev_b32_e32 v18, 16, v41
	s_clause 0x2
	scratch_store_b32 off, v41, off offset:128
	scratch_store_b32 off, v32, off offset:56
	;; [unrolled: 1-line block ×3, first 2 shown]
	ds_store_2addr_b32 v145, v0, v1 offset0:42 offset1:123
	v_add_co_u32 v0, vcc_lo, v2, s2
	global_load_b32 v2, v[2:3], off
	s_wait_alu 0xfffd
	v_add_co_ci_u32_e32 v1, vcc_lo, s3, v3, vcc_lo
	v_lshrrev_b32_e32 v3, 16, v4
	v_mul_f16_e32 v5, v18, v4
	s_clause 0x1
	scratch_store_b32 off, v18, off offset:132
	scratch_store_b32 off, v19, off offset:44
	v_fma_f16 v5, v41, v3, -v5
	v_mul_f16_e32 v3, v18, v3
	s_delay_alu instid0(VALU_DEP_1) | instskip(SKIP_3) | instid1(VALU_DEP_1)
	v_fmac_f16_e32 v3, v41, v4
	s_wait_loadcnt 0x0
	v_lshrrev_b32_e32 v4, 16, v2
	v_mul_f16_e32 v18, v19, v2
	v_fma_f16 v18, v30, v4, -v18
	v_mul_f16_e32 v4, v19, v4
	s_delay_alu instid0(VALU_DEP_1) | instskip(SKIP_1) | instid1(VALU_DEP_2)
	v_fmac_f16_e32 v4, v30, v2
	v_pack_b32_f16 v2, v3, v5
	v_pack_b32_f16 v3, v4, v18
	global_load_b32 v4, v[6:7], off
	ds_store_2addr_b32 v172, v2, v3 offset0:29 offset1:110
	v_add_co_u32 v2, vcc_lo, v0, s2
	global_load_b32 v0, v[0:1], off
	global_load_b32 v6, v171, s[4:5] offset:5184
	s_wait_alu 0xfffd
	v_add_co_ci_u32_e32 v3, vcc_lo, s3, v1, vcc_lo
	scratch_store_b32 off, v38, off offset:96 ; 4-byte Folded Spill
	s_wait_loadcnt 0x2
	v_lshrrev_b32_e32 v1, 16, v4
	s_wait_loadcnt 0x0
	v_lshrrev_b32_e32 v7, 16, v6
	s_clause 0x1
	scratch_store_b32 off, v6, off offset:104
	scratch_store_b32 off, v7, off offset:108
	v_mul_f16_e32 v5, v7, v4
	s_delay_alu instid0(VALU_DEP_1) | instskip(SKIP_2) | instid1(VALU_DEP_2)
	v_fma_f16 v5, v6, v1, -v5
	v_mul_f16_e32 v1, v7, v1
	v_lshrrev_b32_e32 v7, 16, v29
	v_fmac_f16_e32 v1, v6, v4
	v_lshrrev_b32_e32 v4, 16, v0
	s_delay_alu instid0(VALU_DEP_3)
	v_mul_f16_e32 v6, v7, v0
	scratch_store_b32 off, v7, off offset:36 ; 4-byte Folded Spill
	v_fma_f16 v6, v29, v4, -v6
	v_mul_f16_e32 v4, v7, v4
	v_lshrrev_b32_e32 v7, 16, v28
	scratch_store_b32 off, v29, off offset:32 ; 4-byte Folded Spill
	v_fmac_f16_e32 v4, v29, v0
	scratch_store_b32 off, v7, off offset:28 ; 4-byte Folded Spill
	v_pack_b32_f16 v0, v1, v5
	v_pack_b32_f16 v1, v4, v6
	global_load_b32 v4, v[8:9], off
	v_lshrrev_b32_e32 v6, 16, v40
	scratch_store_b32 off, v40, off offset:112 ; 4-byte Folded Spill
	ds_store_2addr_b32 v144, v0, v1 offset0:16 offset1:97
	v_add_co_u32 v0, vcc_lo, v2, s2
	scratch_store_b32 off, v6, off offset:116 ; 4-byte Folded Spill
	global_load_b32 v2, v[2:3], off
	s_wait_alu 0xfffd
	v_add_co_ci_u32_e32 v1, vcc_lo, s3, v3, vcc_lo
	s_wait_loadcnt 0x1
	v_lshrrev_b32_e32 v3, 16, v4
	v_mul_f16_e32 v5, v6, v4
	s_delay_alu instid0(VALU_DEP_1) | instskip(SKIP_3) | instid1(VALU_DEP_2)
	v_fma_f16 v5, v40, v3, -v5
	v_mul_f16_e32 v3, v6, v3
	s_wait_loadcnt 0x0
	v_mul_f16_e32 v6, v7, v2
	v_fmac_f16_e32 v3, v40, v4
	v_lshrrev_b32_e32 v4, 16, v2
	s_delay_alu instid0(VALU_DEP_1)
	v_fma_f16 v6, v28, v4, -v6
	v_mul_f16_e32 v4, v7, v4
	v_lshrrev_b32_e32 v7, 16, v27
	scratch_store_b32 off, v28, off offset:24 ; 4-byte Folded Spill
	v_fmac_f16_e32 v4, v28, v2
	scratch_store_b32 off, v7, off offset:20 ; 4-byte Folded Spill
	v_pack_b32_f16 v2, v3, v5
	v_pack_b32_f16 v3, v4, v6
	global_load_b32 v4, v[10:11], off
	v_lshrrev_b32_e32 v6, 16, v35
	scratch_store_b32 off, v35, off offset:88 ; 4-byte Folded Spill
	ds_store_2addr_b32 v166, v2, v3 offset0:3 offset1:84
	v_add_co_u32 v2, vcc_lo, v0, s2
	scratch_store_b32 off, v6, off offset:92 ; 4-byte Folded Spill
	global_load_b32 v0, v[0:1], off
	s_wait_alu 0xfffd
	v_add_co_ci_u32_e32 v3, vcc_lo, s3, v1, vcc_lo
	s_wait_loadcnt 0x1
	v_lshrrev_b32_e32 v1, 16, v4
	v_mul_f16_e32 v5, v6, v4
	s_delay_alu instid0(VALU_DEP_1) | instskip(SKIP_3) | instid1(VALU_DEP_2)
	v_fma_f16 v5, v35, v1, -v5
	v_mul_f16_e32 v1, v6, v1
	s_wait_loadcnt 0x0
	v_mul_f16_e32 v6, v7, v0
	v_fmac_f16_e32 v1, v35, v4
	v_lshrrev_b32_e32 v4, 16, v0
	s_delay_alu instid0(VALU_DEP_1) | instskip(SKIP_2) | instid1(VALU_DEP_2)
	v_fma_f16 v6, v27, v4, -v6
	v_mul_f16_e32 v4, v7, v4
	v_lshrrev_b32_e32 v7, 16, v26
	v_fmac_f16_e32 v4, v27, v0
	v_pack_b32_f16 v0, v1, v5
	scratch_store_b32 off, v7, off offset:12 ; 4-byte Folded Spill
	v_pack_b32_f16 v1, v4, v6
	v_add_nc_u32_e32 v4, 0x1a00, v171
	v_lshrrev_b32_e32 v6, 16, v38
	ds_store_2addr_b32 v4, v0, v1 offset0:118 offset1:199
	v_mov_b32_e32 v109, v4
	global_load_b32 v4, v[12:13], off
	v_add_co_u32 v0, vcc_lo, v2, s2
	global_load_b32 v2, v[2:3], off
	s_wait_alu 0xfffd
	v_add_co_ci_u32_e32 v1, vcc_lo, s3, v3, vcc_lo
	scratch_store_b32 off, v6, off offset:100 ; 4-byte Folded Spill
	v_cmp_gt_u16_e32 vcc_lo, 9, v84
	v_add_nc_u32_e32 v177, 0xe00, v171
	s_wait_loadcnt 0x1
	v_lshrrev_b32_e32 v3, 16, v4
	v_mul_f16_e32 v5, v6, v4
	s_delay_alu instid0(VALU_DEP_1) | instskip(SKIP_3) | instid1(VALU_DEP_2)
	v_fma_f16 v5, v38, v3, -v5
	v_mul_f16_e32 v3, v6, v3
	s_wait_loadcnt 0x0
	v_mul_f16_e32 v6, v7, v2
	v_fmac_f16_e32 v3, v38, v4
	v_lshrrev_b32_e32 v4, 16, v2
	s_delay_alu instid0(VALU_DEP_1) | instskip(SKIP_1) | instid1(VALU_DEP_1)
	v_fma_f16 v6, v26, v4, -v6
	v_mul_f16_e32 v4, v7, v4
	v_fmac_f16_e32 v4, v26, v2
	v_pack_b32_f16 v2, v3, v5
	v_lshrrev_b32_e32 v5, 16, v25
	s_clause 0x1
	scratch_store_b32 off, v26, off offset:8
	scratch_store_b32 off, v27, off offset:16
	v_pack_b32_f16 v3, v4, v6
	v_add_nc_u32_e32 v4, 0x1e00, v171
	ds_store_2addr_b32 v4, v2, v3 offset0:105 offset1:186
	global_load_b32 v2, v[14:15], off
	global_load_b32 v0, v[0:1], off
	v_mov_b32_e32 v205, v4
	v_lshrrev_b32_e32 v4, 16, v33
	s_clause 0x2
	scratch_store_b32 off, v33, off offset:72
	scratch_store_b32 off, v25, off
	scratch_store_b32 off, v5, off offset:4
	s_load_b128 s[8:11], s[10:11], 0x0
	scratch_store_b32 off, v4, off offset:76 ; 4-byte Folded Spill
	s_wait_kmcnt 0x0
	s_mul_u64 s[12:13], s[8:9], 0x3cc
	s_wait_loadcnt 0x1
	v_lshrrev_b32_e32 v1, 16, v2
	v_mul_f16_e32 v3, v4, v2
	s_delay_alu instid0(VALU_DEP_1) | instskip(SKIP_3) | instid1(VALU_DEP_2)
	v_fma_f16 v3, v33, v1, -v3
	v_mul_f16_e32 v1, v4, v1
	s_wait_loadcnt 0x0
	v_mul_f16_e32 v4, v5, v0
	v_fmac_f16_e32 v1, v33, v2
	v_lshrrev_b32_e32 v2, 16, v0
	s_delay_alu instid0(VALU_DEP_1) | instskip(SKIP_1) | instid1(VALU_DEP_1)
	v_fma_f16 v4, v25, v2, -v4
	v_mul_f16_e32 v2, v5, v2
	v_fmac_f16_e32 v2, v25, v0
	v_pack_b32_f16 v0, v1, v3
	v_lshrrev_b32_e32 v3, 16, v37
	scratch_store_b32 off, v37, off offset:80 ; 4-byte Folded Spill
	v_pack_b32_f16 v1, v2, v4
	scratch_store_b32 off, v3, off offset:84 ; 4-byte Folded Spill
	ds_store_2addr_b32 v153, v0, v1 offset0:92 offset1:173
	global_load_b32 v0, v[16:17], off
	s_wait_loadcnt 0x0
	v_lshrrev_b32_e32 v1, 16, v0
	v_mul_f16_e32 v2, v3, v0
	s_delay_alu instid0(VALU_DEP_1) | instskip(SKIP_1) | instid1(VALU_DEP_1)
	v_fma_f16 v2, v37, v1, -v2
	v_mul_f16_e32 v1, v3, v1
	v_fmac_f16_e32 v1, v37, v0
	s_delay_alu instid0(VALU_DEP_1)
	v_pack_b32_f16 v0, v1, v2
	ds_store_b32 v171, v0 offset:648
	global_wb scope:SCOPE_SE
	s_wait_storecnt_dscnt 0x0
	s_barrier_signal -1
	s_barrier_wait -1
	global_inv scope:SCOPE_SE
	ds_load_2addr_b32 v[21:22], v179 offset0:102 offset1:183
	ds_load_2addr_b32 v[23:24], v177 offset0:76 offset1:157
	;; [unrolled: 1-line block ×9, first 2 shown]
	ds_load_2addr_b32 v[12:13], v171 offset1:81
	s_wait_dscnt 0x9
	v_lshrrev_b32_e32 v14, 16, v21
	s_wait_dscnt 0x8
	v_sub_f16_e32 v0, v21, v23
	s_wait_dscnt 0x6
	v_sub_f16_e32 v1, v25, v27
	v_lshrrev_b32_e32 v15, 16, v23
	v_lshrrev_b32_e32 v16, 16, v27
	;; [unrolled: 1-line block ×3, first 2 shown]
	s_wait_dscnt 0x5
	v_lshrrev_b32_e32 v18, 16, v7
	v_add_f16_e32 v31, v0, v1
	s_wait_dscnt 0x4
	v_sub_f16_e32 v0, v5, v7
	s_wait_dscnt 0x2
	v_sub_f16_e32 v1, v9, v11
	v_lshrrev_b32_e32 v19, 16, v11
	v_lshrrev_b32_e32 v20, 16, v5
	;; [unrolled: 1-line block ×3, first 2 shown]
	s_wait_dscnt 0x1
	v_lshrrev_b32_e32 v30, 16, v3
	v_add_f16_e32 v32, v0, v1
	v_sub_f16_e32 v0, v14, v15
	v_sub_f16_e32 v1, v17, v16
	;; [unrolled: 1-line block ×6, first 2 shown]
	v_add_f16_e32 v33, v0, v1
	v_sub_f16_e32 v0, v20, v18
	v_sub_f16_e32 v1, v29, v19
	s_wait_dscnt 0x0
	v_lshrrev_b32_e32 v44, 16, v12
	v_add_f16_e32 v43, v23, v27
	v_add_f16_e32 v45, v15, v16
	;; [unrolled: 1-line block ×6, first 2 shown]
	v_fma_f16 v43, -0.5, v43, v12
	v_fma_f16 v45, -0.5, v45, v44
	v_add_f16_e32 v47, v47, v18
	v_fma_f16 v35, -0.5, v0, v3
	v_add_f16_e32 v0, v18, v19
	v_add_f16_e32 v46, v46, v15
	v_sub_f16_e32 v49, v14, v17
	v_sub_f16_e32 v50, v15, v16
	;; [unrolled: 1-line block ×3, first 2 shown]
	v_fma_f16 v36, -0.5, v0, v30
	v_fmamk_f16 v0, v37, 0x3b9c, v35
	v_add_f16_e32 v14, v14, v17
	v_fmamk_f16 v51, v49, 0x3b9c, v43
	v_fmac_f16_e32 v35, 0xbb9c, v37
	v_fmamk_f16 v1, v39, 0xbb9c, v36
	v_fmac_f16_e32 v0, 0x38b4, v38
	v_fmac_f16_e32 v44, -0.5, v14
	v_fmac_f16_e32 v51, 0x38b4, v50
	v_fmac_f16_e32 v36, 0x3b9c, v39
	;; [unrolled: 1-line block ×8, first 2 shown]
	v_mul_f16_e32 v41, 0x3a79, v0
	v_mul_f16_e32 v42, 0xb8b4, v0
	v_add_f16_e32 v0, v12, v21
	v_fmac_f16_e32 v43, 0xbb9c, v49
	v_fmac_f16_e32 v35, 0x34f2, v32
	;; [unrolled: 1-line block ×4, first 2 shown]
	v_add_f16_e32 v0, v0, v23
	v_add_f16_e32 v1, v3, v5
	v_fmac_f16_e32 v36, 0x34f2, v34
	v_fmac_f16_e32 v43, 0xb8b4, v50
	v_sub_f16_e32 v32, v22, v26
	v_add_f16_e32 v0, v0, v27
	v_add_f16_e32 v1, v1, v7
	v_sub_f16_e32 v7, v7, v5
	v_add_f16_e32 v5, v5, v9
	v_fmac_f16_e32 v43, 0x34f2, v31
	v_add_f16_e32 v48, v0, v25
	v_add_f16_e32 v0, v46, v16
	;; [unrolled: 1-line block ×3, first 2 shown]
	v_sub_f16_e32 v46, v21, v25
	v_sub_f16_e32 v16, v16, v17
	;; [unrolled: 1-line block ×3, first 2 shown]
	v_add_f16_e32 v54, v0, v17
	v_sub_f16_e32 v17, v18, v20
	v_add_f16_e32 v18, v20, v29
	v_add_f16_e32 v52, v1, v9
	;; [unrolled: 1-line block ×3, first 2 shown]
	v_sub_f16_e32 v47, v23, v27
	v_fmamk_f16 v53, v46, 0xbb9c, v45
	v_fmac_f16_e32 v30, -0.5, v18
	v_sub_f16_e32 v19, v19, v29
	v_add_f16_e32 v55, v1, v29
	v_add_f16_e32 v7, v7, v11
	v_fmac_f16_e32 v53, 0xb8b4, v47
	v_add_f16_e32 v11, v15, v16
	v_add_f16_e32 v15, v21, v25
	v_fma_f16 v3, -0.5, v5, v3
	v_fmamk_f16 v9, v40, 0x3b9c, v30
	v_fmac_f16_e32 v30, 0xbb9c, v40
	v_fmac_f16_e32 v53, 0x34f2, v33
	v_add_f16_e32 v0, v48, v52
	v_add_f16_e32 v1, v54, v55
	v_sub_f16_e32 v23, v23, v21
	v_sub_f16_e32 v27, v27, v25
	v_add_f16_e32 v14, v17, v19
	v_fma_f16 v25, -0.5, v15, v12
	v_fmamk_f16 v5, v38, 0xbb9c, v3
	v_fmac_f16_e32 v3, 0x3b9c, v38
	v_fmac_f16_e32 v30, 0x38b4, v39
	v_pack_b32_f16 v0, v0, v1
	v_add_f16_e32 v1, v51, v41
	v_add_f16_e32 v56, v53, v42
	;; [unrolled: 1-line block ×3, first 2 shown]
	v_fmamk_f16 v27, v50, 0xbb9c, v25
	v_fmac_f16_e32 v25, 0x3b9c, v50
	v_fmac_f16_e32 v5, 0x38b4, v37
	;; [unrolled: 1-line block ×4, first 2 shown]
	v_pack_b32_f16 v1, v1, v56
	v_fmac_f16_e32 v27, 0x38b4, v49
	v_fmac_f16_e32 v25, 0xb8b4, v49
	;; [unrolled: 1-line block ×4, first 2 shown]
	v_fmamk_f16 v7, v47, 0x3b9c, v44
	v_fmac_f16_e32 v44, 0xbb9c, v47
	v_fmac_f16_e32 v9, 0xb8b4, v39
	v_mul_f16_e32 v56, 0xb4f2, v30
	v_fmac_f16_e32 v27, 0x34f2, v23
	v_fmac_f16_e32 v25, 0x34f2, v23
	;; [unrolled: 1-line block ×4, first 2 shown]
	v_mul_f16_e32 v23, 0xb4f2, v3
	v_fmac_f16_e32 v56, 0xbb9c, v3
	v_mul_f16_e32 v3, 0xbb9c, v5
	v_fmac_f16_e32 v7, 0xb8b4, v46
	v_fmac_f16_e32 v44, 0x34f2, v11
	;; [unrolled: 1-line block ×5, first 2 shown]
	v_mul_f16_e32 v9, 0x3b9c, v9
	v_fmac_f16_e32 v7, 0x34f2, v11
	v_add_f16_e32 v11, v44, v56
	v_fmac_f16_e32 v45, 0x38b4, v47
	v_sub_f16_e32 v31, v24, v28
	v_fmac_f16_e32 v9, 0x34f2, v5
	v_add_f16_e32 v5, v25, v23
	s_delay_alu instid0(VALU_DEP_4) | instskip(NEXT) | instid1(VALU_DEP_2)
	v_fmac_f16_e32 v45, 0x34f2, v33
	v_pack_b32_f16 v30, v5, v11
	v_add_f16_e32 v5, v7, v3
	v_add_f16_e32 v11, v27, v9
	v_sub_f16_e32 v3, v7, v3
	v_mul_f16_e32 v7, 0xba79, v35
	s_delay_alu instid0(VALU_DEP_3)
	v_pack_b32_f16 v29, v11, v5
	v_mul_lo_u16 v5, v84, 10
	ds_load_2addr_b32 v[11:12], v150 offset0:68 offset1:149
	ds_load_2addr_b32 v[14:15], v145 offset0:42 offset1:123
	;; [unrolled: 1-line block ×5, first 2 shown]
	global_wb scope:SCOPE_SE
	s_wait_dscnt 0x0
	s_barrier_signal -1
	s_barrier_wait -1
	v_and_b32_e32 v5, 0xffff, v5
	global_inv scope:SCOPE_SE
	v_fmac_f16_e32 v7, 0x38b4, v36
	v_lshlrev_b32_e32 v5, 2, v5
	ds_store_2addr_b64 v5, v[0:1], v[29:30] offset1:1
	v_mov_b32_e32 v57, v5
	v_sub_f16_e32 v0, v51, v41
	v_sub_f16_e32 v1, v53, v42
	;; [unrolled: 1-line block ×3, first 2 shown]
	v_mul_f16_e32 v9, 0xba79, v36
	v_sub_f16_e32 v27, v26, v28
	v_lshrrev_b32_e32 v34, 16, v20
	v_pack_b32_f16 v0, v0, v1
	v_pack_b32_f16 v1, v5, v3
	v_sub_f16_e32 v3, v48, v52
	v_sub_f16_e32 v5, v54, v55
	v_fmac_f16_e32 v9, 0xb8b4, v35
	v_lshrrev_b32_e32 v35, 16, v18
	v_lshrrev_b32_e32 v37, 16, v14
	;; [unrolled: 1-line block ×3, first 2 shown]
	v_pack_b32_f16 v30, v3, v5
	v_add_f16_e32 v3, v43, v7
	v_add_f16_e32 v5, v45, v9
	v_sub_f16_e32 v49, v20, v18
	v_sub_f16_e32 v40, v35, v38
	;; [unrolled: 1-line block ×4, first 2 shown]
	v_pack_b32_f16 v29, v3, v5
	v_sub_f16_e32 v5, v44, v56
	v_sub_f16_e32 v3, v45, v9
	v_add_f16_e32 v9, v22, v26
	v_sub_f16_e32 v48, v37, v38
	ds_store_2addr_b64 v57, v[29:30], v[0:1] offset0:2 offset1:3
	v_sub_f16_e32 v0, v25, v23
	v_sub_f16_e32 v1, v43, v7
	;; [unrolled: 1-line block ×4, first 2 shown]
	v_add_f16_e32 v23, v34, v35
	v_pack_b32_f16 v29, v0, v5
	v_add_f16_e32 v0, v13, v22
	v_pack_b32_f16 v30, v1, v3
	v_add_f16_e32 v3, v24, v28
	v_lshrrev_b32_e32 v1, 16, v24
	v_sub_f16_e32 v5, v24, v22
	v_add_f16_e32 v0, v0, v24
	ds_store_b64 v57, v[29:30] offset:32
	v_lshrrev_b32_e32 v24, 16, v28
	v_fma_f16 v3, -0.5, v3, v13
	v_add_f16_e32 v5, v5, v7
	v_add_f16_e32 v0, v0, v28
	v_lshrrev_b32_e32 v28, 16, v22
	v_sub_f16_e32 v22, v18, v16
	scratch_store_b32 off, v57, off offset:248 ; 4-byte Folded Spill
	v_and_b32_e32 v52, 0xffff, v98
	v_add_f16_e32 v33, v0, v26
	v_lshrrev_b32_e32 v0, 16, v13
	v_fmac_f16_e32 v13, -0.5, v9
	v_sub_f16_e32 v9, v20, v14
	v_lshrrev_b32_e32 v26, 16, v26
	s_delay_alu instid0(VALU_DEP_4) | instskip(NEXT) | instid1(VALU_DEP_3)
	v_add_f16_e32 v43, v0, v28
	v_add_f16_e32 v9, v9, v22
	v_lshrrev_b32_e32 v22, 16, v11
	s_delay_alu instid0(VALU_DEP_4) | instskip(SKIP_2) | instid1(VALU_DEP_4)
	v_sub_f16_e32 v42, v28, v26
	v_add_f16_e32 v7, v28, v26
	v_sub_f16_e32 v44, v24, v26
	v_fma_f16 v36, -0.5, v23, v22
	v_add_f16_e32 v23, v37, v38
	v_add_f16_e32 v39, v22, v37
	s_delay_alu instid0(VALU_DEP_2) | instskip(SKIP_1) | instid1(VALU_DEP_2)
	v_fmac_f16_e32 v22, -0.5, v23
	v_sub_f16_e32 v23, v34, v37
	v_fmamk_f16 v50, v49, 0x3b9c, v22
	s_delay_alu instid0(VALU_DEP_2) | instskip(SKIP_2) | instid1(VALU_DEP_4)
	v_add_f16_e32 v23, v23, v40
	v_sub_f16_e32 v40, v1, v24
	v_fmac_f16_e32 v22, 0xbb9c, v49
	v_fmac_f16_e32 v50, 0xb8b4, v51
	s_delay_alu instid0(VALU_DEP_3) | instskip(SKIP_1) | instid1(VALU_DEP_4)
	v_fmamk_f16 v41, v40, 0xbb9c, v13
	v_fmac_f16_e32 v13, 0x3b9c, v40
	v_fmac_f16_e32 v22, 0x38b4, v51
	s_delay_alu instid0(VALU_DEP_4) | instskip(NEXT) | instid1(VALU_DEP_4)
	v_fmac_f16_e32 v50, 0x34f2, v23
	v_fmac_f16_e32 v41, 0x38b4, v42
	s_delay_alu instid0(VALU_DEP_4) | instskip(NEXT) | instid1(VALU_DEP_4)
	v_fmac_f16_e32 v13, 0xb8b4, v42
	v_fmac_f16_e32 v22, 0x34f2, v23
	s_delay_alu instid0(VALU_DEP_3) | instskip(NEXT) | instid1(VALU_DEP_3)
	v_fmac_f16_e32 v41, 0x34f2, v5
	v_fmac_f16_e32 v13, 0x34f2, v5
	v_add_f16_e32 v5, v1, v24
	s_delay_alu instid0(VALU_DEP_1) | instskip(SKIP_2) | instid1(VALU_DEP_1)
	v_fma_f16 v5, -0.5, v5, v0
	v_fmac_f16_e32 v0, -0.5, v7
	v_sub_f16_e32 v7, v1, v28
	v_add_f16_e32 v7, v7, v44
	s_delay_alu instid0(VALU_DEP_3) | instskip(SKIP_1) | instid1(VALU_DEP_2)
	v_fmamk_f16 v44, v31, 0x3b9c, v0
	v_fmac_f16_e32 v0, 0xbb9c, v31
	v_fmac_f16_e32 v44, 0xb8b4, v32
	s_delay_alu instid0(VALU_DEP_2) | instskip(NEXT) | instid1(VALU_DEP_2)
	v_fmac_f16_e32 v0, 0x38b4, v32
	v_fmac_f16_e32 v44, 0x34f2, v7
	s_delay_alu instid0(VALU_DEP_2) | instskip(SKIP_1) | instid1(VALU_DEP_1)
	v_fmac_f16_e32 v0, 0x34f2, v7
	v_add_f16_e32 v7, v14, v16
	v_fma_f16 v45, -0.5, v7, v11
	v_mul_f16_e32 v7, 0xb4f2, v22
	s_delay_alu instid0(VALU_DEP_2) | instskip(SKIP_1) | instid1(VALU_DEP_2)
	v_fmamk_f16 v47, v46, 0xbb9c, v45
	v_fmac_f16_e32 v45, 0x3b9c, v46
	v_fmac_f16_e32 v47, 0x38b4, v48
	s_delay_alu instid0(VALU_DEP_2) | instskip(NEXT) | instid1(VALU_DEP_2)
	v_fmac_f16_e32 v45, 0xb8b4, v48
	v_fmac_f16_e32 v47, 0x34f2, v9
	s_delay_alu instid0(VALU_DEP_2) | instskip(NEXT) | instid1(VALU_DEP_1)
	v_fmac_f16_e32 v45, 0x34f2, v9
	v_mul_f16_e32 v9, 0xb4f2, v45
	v_fmac_f16_e32 v7, 0xbb9c, v45
	v_mul_f16_e32 v45, 0x3b9c, v50
	s_delay_alu instid0(VALU_DEP_3) | instskip(NEXT) | instid1(VALU_DEP_3)
	v_fmac_f16_e32 v9, 0x3b9c, v22
	v_add_f16_e32 v23, v0, v7
	s_delay_alu instid0(VALU_DEP_3)
	v_fmac_f16_e32 v45, 0x34f2, v47
	v_mul_f16_e32 v47, 0xbb9c, v47
	v_sub_f16_e32 v0, v0, v7
	v_add_f16_e32 v22, v13, v9
	v_sub_f16_e32 v9, v13, v9
	v_sub_f16_e32 v7, v15, v21
	v_fmac_f16_e32 v47, 0x34f2, v50
	s_delay_alu instid0(VALU_DEP_4) | instskip(SKIP_2) | instid1(VALU_DEP_4)
	v_pack_b32_f16 v23, v22, v23
	v_add_f16_e32 v22, v41, v45
	v_pack_b32_f16 v13, v9, v0
	v_add_f16_e32 v50, v44, v47
	v_add_f16_e32 v0, v12, v15
	v_sub_f16_e32 v9, v21, v15
	s_delay_alu instid0(VALU_DEP_3) | instskip(SKIP_4) | instid1(VALU_DEP_3)
	v_pack_b32_f16 v22, v22, v50
	v_add_f16_e32 v50, v25, v27
	v_add_f16_e32 v25, v43, v1
	v_sub_f16_e32 v1, v28, v1
	v_add_f16_e32 v0, v0, v21
	v_add_f16_e32 v25, v25, v24
	v_sub_f16_e32 v24, v26, v24
	s_delay_alu instid0(VALU_DEP_3) | instskip(NEXT) | instid1(VALU_DEP_3)
	v_add_f16_e32 v0, v0, v19
	v_add_f16_e32 v28, v25, v26
	s_delay_alu instid0(VALU_DEP_3) | instskip(SKIP_4) | instid1(VALU_DEP_3)
	v_add_f16_e32 v1, v1, v24
	v_sub_f16_e32 v24, v14, v20
	v_sub_f16_e32 v25, v16, v18
	;; [unrolled: 1-line block ×3, first 2 shown]
	v_add_f16_e32 v0, v0, v17
	v_add_f16_e32 v43, v24, v25
	;; [unrolled: 1-line block ×3, first 2 shown]
	v_sub_f16_e32 v25, v37, v34
	s_delay_alu instid0(VALU_DEP_2) | instskip(NEXT) | instid1(VALU_DEP_2)
	v_add_f16_e32 v24, v24, v35
	v_add_f16_e32 v34, v25, v26
	v_fmamk_f16 v25, v51, 0xbb9c, v36
	v_fmac_f16_e32 v36, 0x3b9c, v51
	v_and_b32_e32 v51, 0xffff, v99
	v_add_f16_e32 v35, v24, v38
	v_add_f16_e32 v24, v20, v18
	v_fmac_f16_e32 v25, 0xb8b4, v49
	v_fmac_f16_e32 v36, 0x38b4, v49
	v_and_b32_e32 v49, 0xffff, v91
	s_delay_alu instid0(VALU_DEP_4)
	v_fma_f16 v37, -0.5, v24, v11
	v_add_f16_e32 v11, v11, v14
	v_fmamk_f16 v14, v42, 0x3b9c, v3
	v_fmac_f16_e32 v25, 0x34f2, v34
	v_fmac_f16_e32 v3, 0xbb9c, v42
	v_fmamk_f16 v24, v48, 0x3b9c, v37
	v_add_f16_e32 v11, v11, v20
	v_fmamk_f16 v20, v32, 0xbb9c, v5
	v_fmac_f16_e32 v14, 0x38b4, v40
	v_fmac_f16_e32 v37, 0xbb9c, v48
	;; [unrolled: 1-line block ×3, first 2 shown]
	v_add_f16_e32 v11, v11, v18
	v_fmac_f16_e32 v20, 0xb8b4, v31
	v_fmac_f16_e32 v14, 0x34f2, v50
	v_fmac_f16_e32 v37, 0xb8b4, v46
	v_fmac_f16_e32 v24, 0x34f2, v43
	v_add_f16_e32 v16, v11, v16
	v_fmac_f16_e32 v20, 0x34f2, v1
	v_fmac_f16_e32 v5, 0x3b9c, v32
	;; [unrolled: 1-line block ×3, first 2 shown]
	v_mul_f16_e32 v26, 0x3a79, v24
	v_mul_f16_e32 v27, 0xb8b4, v24
	v_fmac_f16_e32 v36, 0x34f2, v34
	v_fmac_f16_e32 v3, 0xb8b4, v40
	;; [unrolled: 1-line block ×5, first 2 shown]
	v_sub_f16_e32 v34, v10, v8
	v_fmac_f16_e32 v3, 0x34f2, v50
	v_fmac_f16_e32 v5, 0x34f2, v1
	v_add_f16_e32 v11, v14, v26
	v_add_f16_e32 v18, v20, v27
	v_sub_f16_e32 v1, v33, v16
	v_add_co_u32 v48, null, 0xa2, v174
	v_and_b32_e32 v50, 0xffff, v90
	s_delay_alu instid0(VALU_DEP_4)
	v_pack_b32_f16 v25, v11, v18
	v_add_f16_e32 v11, v33, v16
	v_add_f16_e32 v18, v28, v35
	v_sub_f16_e32 v16, v28, v35
	v_sub_f16_e32 v33, v6, v4
	;; [unrolled: 1-line block ×3, first 2 shown]
	s_delay_alu instid0(VALU_DEP_4)
	v_pack_b32_f16 v24, v11, v18
	v_sub_f16_e32 v11, v14, v26
	v_sub_f16_e32 v14, v41, v45
	;; [unrolled: 1-line block ×4, first 2 shown]
	v_pack_b32_f16 v29, v1, v16
	v_add_co_u32 v1, s2, 0x51, v174
	s_delay_alu instid0(VALU_DEP_4) | instskip(NEXT) | instid1(VALU_DEP_4)
	v_pack_b32_f16 v26, v11, v18
	v_pack_b32_f16 v27, v14, v20
	v_mul_f16_e32 v11, 0xba79, v37
	v_mul_f16_e32 v14, 0xba79, v36
	v_add_f16_e32 v33, v33, v34
	v_sub_f16_e32 v34, v4, v6
	s_wait_alu 0xf1ff
	v_add_co_ci_u32_e64 v16, null, 0, 0, s2
	v_fmac_f16_e32 v11, 0x38b4, v36
	v_fmac_f16_e32 v14, 0xb8b4, v37
	v_lshrrev_b32_e32 v36, 16, v4
	v_sub_f16_e32 v37, v4, v8
	s_delay_alu instid0(VALU_DEP_4) | instskip(NEXT) | instid1(VALU_DEP_4)
	v_add_f16_e32 v18, v3, v11
	v_add_f16_e32 v20, v5, v14
	v_sub_f16_e32 v3, v3, v11
	v_sub_f16_e32 v5, v5, v14
	v_sub_f16_e32 v11, v21, v19
	s_delay_alu instid0(VALU_DEP_4) | instskip(SKIP_1) | instid1(VALU_DEP_4)
	v_pack_b32_f16 v28, v18, v20
	v_mul_u32_u24_e32 v18, 10, v1
	v_pack_b32_f16 v14, v3, v5
	v_lshrrev_b32_e32 v5, 16, v21
	v_add_f16_e32 v3, v21, v19
	v_sub_f16_e32 v20, v17, v19
	v_lshlrev_b32_e32 v183, 2, v18
	ds_store_2addr_b64 v183, v[24:25], v[22:23] offset1:1
	ds_store_2addr_b64 v183, v[28:29], v[26:27] offset0:2 offset1:3
	v_lshrrev_b32_e32 v18, 16, v19
	v_sub_f16_e32 v19, v19, v17
	v_lshrrev_b32_e32 v21, 16, v15
	v_add_f16_e32 v22, v15, v17
	v_sub_f16_e32 v15, v15, v17
	v_lshrrev_b32_e32 v17, 16, v17
	v_add_f16_e32 v23, v6, v10
	v_add_f16_e32 v24, v4, v8
	v_lshrrev_b32_e32 v25, 16, v2
	v_add_f16_e32 v26, v2, v4
	v_add_f16_e32 v9, v9, v19
	v_fma_f16 v23, -0.5, v23, v2
	v_fmac_f16_e32 v2, -0.5, v24
	v_fma_f16 v24, -0.5, v3, v12
	v_lshrrev_b32_e32 v3, 16, v12
	v_fmac_f16_e32 v12, -0.5, v22
	v_add_f16_e32 v19, v5, v18
	v_add_f16_e32 v22, v21, v17
	v_sub_f16_e32 v28, v18, v17
	v_add_f16_e32 v27, v3, v21
	v_sub_f16_e32 v29, v5, v18
	v_fma_f16 v19, -0.5, v19, v3
	v_fmac_f16_e32 v3, -0.5, v22
	v_sub_f16_e32 v22, v5, v21
	v_sub_f16_e32 v31, v21, v17
	v_fmamk_f16 v30, v29, 0xbb9c, v12
	v_fmac_f16_e32 v12, 0x3b9c, v29
	v_add_f16_e32 v42, v25, v36
	v_add_f16_e32 v22, v22, v28
	v_fmamk_f16 v28, v11, 0x3b9c, v3
	v_fmac_f16_e32 v3, 0xbb9c, v11
	v_fmac_f16_e32 v12, 0xb8b4, v31
	;; [unrolled: 1-line block ×3, first 2 shown]
	v_add_f16_e32 v20, v7, v20
	v_fmac_f16_e32 v28, 0xb8b4, v15
	v_fmac_f16_e32 v3, 0x38b4, v15
	;; [unrolled: 1-line block ×4, first 2 shown]
	v_sub_f16_e32 v7, v17, v18
	v_fmac_f16_e32 v28, 0x34f2, v22
	v_fmac_f16_e32 v3, 0x34f2, v22
	ds_store_b64 v183, v[13:14] offset:32
	v_mul_f16_e32 v22, 0xbb9c, v30
	v_mul_f16_e32 v9, 0x3b9c, v28
	;; [unrolled: 1-line block ×3, first 2 shown]
	s_delay_alu instid0(VALU_DEP_3) | instskip(NEXT) | instid1(VALU_DEP_3)
	v_fmac_f16_e32 v22, 0x34f2, v28
	v_fmac_f16_e32 v9, 0x34f2, v30
	s_delay_alu instid0(VALU_DEP_3) | instskip(SKIP_1) | instid1(VALU_DEP_1)
	v_fmac_f16_e32 v32, 0xbb9c, v12
	v_mul_f16_e32 v12, 0xb4f2, v12
	v_fmac_f16_e32 v12, 0x3b9c, v3
	v_add_f16_e32 v3, v26, v6
	v_lshrrev_b32_e32 v26, 16, v6
	v_lshrrev_b32_e32 v6, 16, v10
	s_delay_alu instid0(VALU_DEP_3) | instskip(SKIP_1) | instid1(VALU_DEP_3)
	v_add_f16_e32 v3, v3, v10
	v_sub_f16_e32 v10, v8, v10
	v_sub_f16_e32 v39, v26, v6
	s_delay_alu instid0(VALU_DEP_3) | instskip(SKIP_1) | instid1(VALU_DEP_3)
	v_add_f16_e32 v38, v3, v8
	v_lshrrev_b32_e32 v8, 16, v8
	v_fmamk_f16 v40, v39, 0xbb9c, v2
	v_fmac_f16_e32 v2, 0x3b9c, v39
	v_add_f16_e32 v3, v26, v6
	v_add_f16_e32 v10, v34, v10
	v_sub_f16_e32 v41, v36, v8
	v_sub_f16_e32 v4, v6, v8
	s_delay_alu instid0(VALU_DEP_2) | instskip(SKIP_1) | instid1(VALU_DEP_2)
	v_fmac_f16_e32 v2, 0xb8b4, v41
	v_fmac_f16_e32 v40, 0x38b4, v41
	;; [unrolled: 1-line block ×3, first 2 shown]
	s_delay_alu instid0(VALU_DEP_2) | instskip(SKIP_2) | instid1(VALU_DEP_1)
	v_fmac_f16_e32 v40, 0x34f2, v33
	v_fma_f16 v33, -0.5, v3, v25
	v_add_f16_e32 v3, v36, v8
	v_fmac_f16_e32 v25, -0.5, v3
	v_sub_f16_e32 v3, v26, v36
	s_delay_alu instid0(VALU_DEP_2) | instskip(SKIP_1) | instid1(VALU_DEP_3)
	v_fmamk_f16 v43, v35, 0x3b9c, v25
	v_fmac_f16_e32 v25, 0xbb9c, v35
	v_add_f16_e32 v3, v3, v4
	s_delay_alu instid0(VALU_DEP_3) | instskip(NEXT) | instid1(VALU_DEP_3)
	v_fmac_f16_e32 v43, 0xb8b4, v37
	v_fmac_f16_e32 v25, 0x38b4, v37
	s_delay_alu instid0(VALU_DEP_2) | instskip(NEXT) | instid1(VALU_DEP_2)
	v_fmac_f16_e32 v43, 0x34f2, v3
	v_fmac_f16_e32 v25, 0x34f2, v3
	v_add_f16_e32 v3, v2, v12
	s_delay_alu instid0(VALU_DEP_3) | instskip(NEXT) | instid1(VALU_DEP_3)
	v_add_f16_e32 v28, v43, v22
	v_add_f16_e32 v4, v25, v32
	v_sub_f16_e32 v13, v43, v22
	s_delay_alu instid0(VALU_DEP_2) | instskip(SKIP_2) | instid1(VALU_DEP_2)
	v_pack_b32_f16 v4, v3, v4
	v_add_f16_e32 v3, v40, v9
	v_sub_f16_e32 v9, v40, v9
	v_pack_b32_f16 v3, v3, v28
	v_add_f16_e32 v28, v42, v26
	v_sub_f16_e32 v26, v36, v26
	s_delay_alu instid0(VALU_DEP_2) | instskip(SKIP_1) | instid1(VALU_DEP_2)
	v_add_f16_e32 v28, v28, v6
	v_sub_f16_e32 v6, v8, v6
	v_add_f16_e32 v28, v28, v8
	s_delay_alu instid0(VALU_DEP_2)
	v_add_f16_e32 v26, v26, v6
	v_add_f16_e32 v6, v27, v5
	v_sub_f16_e32 v5, v21, v5
	v_fmamk_f16 v21, v41, 0x3b9c, v23
	v_fmamk_f16 v27, v37, 0xbb9c, v33
	v_fmac_f16_e32 v23, 0xbb9c, v41
	v_add_f16_e32 v6, v6, v18
	v_add_f16_e32 v18, v5, v7
	v_fmamk_f16 v5, v31, 0x3b9c, v24
	v_fmac_f16_e32 v21, 0x38b4, v39
	v_fmac_f16_e32 v27, 0xb8b4, v35
	v_add_f16_e32 v17, v6, v17
	v_fmamk_f16 v6, v15, 0xbb9c, v19
	v_fmac_f16_e32 v5, 0x38b4, v29
	v_fmac_f16_e32 v24, 0xbb9c, v31
	;; [unrolled: 1-line block ×10, first 2 shown]
	v_mul_f16_e32 v7, 0x3a79, v5
	v_mul_f16_e32 v8, 0xb8b4, v5
	v_fmac_f16_e32 v33, 0x3b9c, v37
	v_fmac_f16_e32 v24, 0x34f2, v20
	;; [unrolled: 1-line block ×7, first 2 shown]
	v_mul_f16_e32 v11, 0xba79, v24
	v_add_f16_e32 v5, v21, v7
	v_add_f16_e32 v6, v27, v8
	v_sub_f16_e32 v7, v21, v7
	v_sub_f16_e32 v8, v27, v8
	v_fmac_f16_e32 v23, 0x34f2, v10
	v_sub_f16_e32 v10, v28, v17
	v_pack_b32_f16 v6, v5, v6
	v_add_f16_e32 v5, v38, v0
	v_pack_b32_f16 v7, v7, v8
	v_pack_b32_f16 v8, v9, v13
	v_mul_f16_e32 v13, 0xba79, v19
	v_sub_f16_e32 v0, v38, v0
	v_fmac_f16_e32 v33, 0x34f2, v26
	v_fmac_f16_e32 v11, 0x38b4, v19
	v_add_f16_e32 v30, v28, v17
	v_fmac_f16_e32 v13, 0xb8b4, v24
	v_pack_b32_f16 v10, v0, v10
	v_mul_u32_u24_e32 v0, 10, v48
	v_add_f16_e32 v9, v23, v11
	v_pack_b32_f16 v5, v5, v30
	v_add_f16_e32 v14, v33, v13
	s_delay_alu instid0(VALU_DEP_4) | instskip(SKIP_2) | instid1(VALU_DEP_4)
	v_lshlrev_b32_e32 v182, 2, v0
	v_sub_f16_e32 v0, v2, v12
	v_sub_f16_e32 v2, v23, v11
	v_pack_b32_f16 v9, v9, v14
	ds_store_2addr_b64 v182, v[5:6], v[3:4] offset1:1
	ds_store_2addr_b64 v182, v[9:10], v[7:8] offset0:2 offset1:3
	v_sub_f16_e32 v3, v33, v13
	v_sub_f16_e32 v4, v25, v32
	s_delay_alu instid0(VALU_DEP_2) | instskip(NEXT) | instid1(VALU_DEP_2)
	v_pack_b32_f16 v3, v2, v3
	v_pack_b32_f16 v2, v0, v4
	ds_store_b64 v182, v[2:3] offset:32
	v_and_b32_e32 v2, 0xff, v84
	v_and_b32_e32 v3, 0xff, v1
	global_wb scope:SCOPE_SE
	s_wait_storecnt_dscnt 0x0
	s_barrier_signal -1
	s_barrier_wait -1
	v_mul_lo_u16 v0, 0xcd, v2
	v_mul_lo_u16 v4, 0xcd, v3
	global_inv scope:SCOPE_SE
	v_mul_lo_u16 v3, 0x89, v3
	v_lshrrev_b16 v5, 11, v0
	v_lshrrev_b16 v4, 11, v4
	s_delay_alu instid0(VALU_DEP_2) | instskip(SKIP_1) | instid1(VALU_DEP_2)
	v_mul_lo_u16 v0, v5, 10
	v_and_b32_e32 v5, 0xffff, v5
	v_sub_nc_u16 v0, v84, v0
	s_delay_alu instid0(VALU_DEP_2) | instskip(NEXT) | instid1(VALU_DEP_2)
	v_mul_u32_u24_e32 v5, 30, v5
	v_and_b32_e32 v6, 0xff, v0
	v_mul_lo_u16 v0, v4, 10
	v_and_b32_e32 v4, 0xffff, v4
	s_delay_alu instid0(VALU_DEP_3) | instskip(NEXT) | instid1(VALU_DEP_3)
	v_add_lshl_u32 v89, v5, v6, 2
	v_sub_nc_u16 v8, v1, v0
	v_add_co_u32 v0, s2, 0xf3, v174
	s_wait_alu 0xf1ff
	v_add_co_ci_u32_e64 v42, null, 0, 0, s2
	s_delay_alu instid0(VALU_DEP_3) | instskip(NEXT) | instid1(VALU_DEP_3)
	v_and_b32_e32 v8, 0xff, v8
	v_and_b32_e32 v7, 0xffff, v0
	v_mul_u32_u24_e32 v4, 30, v4
	s_delay_alu instid0(VALU_DEP_2) | instskip(NEXT) | instid1(VALU_DEP_1)
	v_mul_u32_u24_e32 v9, 0xcccd, v7
	v_lshrrev_b32_e32 v41, 19, v9
	v_and_b32_e32 v9, 0xff, v48
	s_delay_alu instid0(VALU_DEP_1) | instskip(NEXT) | instid1(VALU_DEP_1)
	v_mul_lo_u16 v10, 0xcd, v9
	v_lshrrev_b16 v43, 11, v10
	s_delay_alu instid0(VALU_DEP_4) | instskip(NEXT) | instid1(VALU_DEP_1)
	v_mul_lo_u16 v10, v41, 10
	v_sub_nc_u16 v44, v0, v10
	s_delay_alu instid0(VALU_DEP_3) | instskip(NEXT) | instid1(VALU_DEP_2)
	v_mul_lo_u16 v10, v43, 10
	v_lshlrev_b16 v11, 1, v44
	s_delay_alu instid0(VALU_DEP_2) | instskip(NEXT) | instid1(VALU_DEP_2)
	v_sub_nc_u16 v10, v48, v10
	v_and_b32_e32 v11, 0xffff, v11
	s_delay_alu instid0(VALU_DEP_2) | instskip(NEXT) | instid1(VALU_DEP_2)
	v_and_b32_e32 v45, 0xff, v10
	v_lshlrev_b32_e32 v10, 2, v11
	v_lshlrev_b32_e32 v11, 3, v6
	s_delay_alu instid0(VALU_DEP_3)
	v_lshlrev_b32_e32 v12, 3, v45
	global_load_b64 v[74:75], v11, s[6:7]
	v_lshlrev_b32_e32 v11, 3, v8
	s_clause 0x2
	global_load_b64 v[70:71], v11, s[6:7]
	global_load_b64 v[64:65], v12, s[6:7]
	;; [unrolled: 1-line block ×3, first 2 shown]
	ds_load_2addr_b32 v[10:11], v145 offset0:42 offset1:123
	ds_load_2addr_b32 v[12:13], v166 offset0:84 offset1:165
	ds_load_2addr_b32 v[14:15], v171 offset1:81
	s_wait_dscnt 0x2
	v_lshrrev_b32_e32 v17, 16, v10
	s_wait_dscnt 0x1
	v_lshrrev_b32_e32 v19, 16, v12
	;; [unrolled: 2-line block ×3, first 2 shown]
	v_lshrrev_b32_e32 v87, 16, v13
	s_wait_loadcnt 0x3
	v_lshrrev_b32_e32 v253, 16, v74
	v_lshrrev_b32_e32 v252, 16, v75
	s_wait_loadcnt 0x2
	v_lshrrev_b32_e32 v242, 16, v70
	s_delay_alu instid0(VALU_DEP_3) | instskip(NEXT) | instid1(VALU_DEP_3)
	v_mul_f16_e64 v18, v10, v253
	v_mul_f16_e64 v20, v12, v252
	v_lshrrev_b32_e32 v178, 16, v71
	s_wait_loadcnt 0x1
	v_lshrrev_b32_e32 v195, 16, v64
	v_lshrrev_b32_e32 v196, 16, v65
	v_fmac_f16_e32 v18, v17, v74
	v_fmac_f16_e32 v20, v19, v75
	v_mul_f16_e64 v17, v17, v253
	v_mul_f16_e64 v19, v19, v252
	;; [unrolled: 1-line block ×3, first 2 shown]
	v_add_f16_e32 v22, v46, v18
	v_add_f16_e32 v21, v18, v20
	v_fma_f16 v10, v10, v74, -v17
	v_fma_f16 v12, v12, v75, -v19
	v_sub_f16_e32 v47, v18, v20
	v_fma_f16 v88, v13, v71, -v88
	v_fmac_f16_e32 v46, -0.5, v21
	v_add_f16_e32 v17, v14, v10
	v_add_f16_e32 v19, v10, v12
	v_sub_f16_e32 v10, v10, v12
	v_mul_u32_u24_e32 v21, 0xcccd, v51
	v_mul_f16_e64 v13, v13, v178
	v_add_f16_e32 v12, v17, v12
	v_fma_f16 v14, -0.5, v19, v14
	v_fmamk_f16 v6, v10, 0xbaee, v46
	v_add_f16_e32 v17, v22, v20
	v_lshrrev_b32_e32 v82, 19, v21
	v_mul_u32_u24_e32 v21, 0xcccd, v52
	v_fmamk_f16 v5, v47, 0x3aee, v14
	v_fmac_f16_e32 v13, v87, v71
	v_pack_b32_f16 v12, v12, v17
	v_fmac_f16_e32 v46, 0x3aee, v10
	v_lshrrev_b32_e32 v83, 19, v21
	v_pack_b32_f16 v53, v5, v6
	v_and_b32_e32 v5, 0xffff, v93
	v_mul_lo_u16 v21, v82, 10
	v_fmac_f16_e32 v14, 0xbaee, v47
	s_wait_loadcnt 0x0
	v_lshrrev_b32_e32 v191, 16, v60
	v_lshrrev_b32_e32 v193, 16, v61
	v_mul_u32_u24_e32 v6, 0xcccd, v5
	v_sub_nc_u16 v85, v99, v21
	v_mul_lo_u16 v21, v83, 10
	v_pack_b32_f16 v14, v14, v46
	v_add_lshl_u32 v46, v4, v8, 2
	v_lshrrev_b32_e32 v54, 19, v6
	s_delay_alu instid0(VALU_DEP_4) | instskip(SKIP_1) | instid1(VALU_DEP_3)
	v_sub_nc_u16 v86, v98, v21
	v_lshlrev_b16 v21, 1, v85
	v_mul_lo_u16 v6, v54, 10
	s_delay_alu instid0(VALU_DEP_3) | instskip(NEXT) | instid1(VALU_DEP_3)
	v_lshlrev_b16 v22, 1, v86
	v_and_b32_e32 v21, 0xffff, v21
	s_delay_alu instid0(VALU_DEP_3) | instskip(SKIP_1) | instid1(VALU_DEP_4)
	v_sub_nc_u16 v55, v93, v6
	v_and_b32_e32 v6, 0xffff, v92
	v_and_b32_e32 v22, 0xffff, v22
	s_delay_alu instid0(VALU_DEP_4) | instskip(NEXT) | instid1(VALU_DEP_3)
	v_lshlrev_b32_e32 v21, 2, v21
	v_mul_u32_u24_e32 v17, 0xcccd, v6
	s_delay_alu instid0(VALU_DEP_3) | instskip(NEXT) | instid1(VALU_DEP_2)
	v_lshlrev_b32_e32 v22, 2, v22
	v_lshrrev_b32_e32 v56, 19, v17
	v_mul_u32_u24_e32 v17, 0xcccd, v49
	s_delay_alu instid0(VALU_DEP_2) | instskip(NEXT) | instid1(VALU_DEP_2)
	v_mul_lo_u16 v18, v56, 10
	v_lshrrev_b32_e32 v57, 19, v17
	v_mul_u32_u24_e32 v17, 0xcccd, v50
	s_delay_alu instid0(VALU_DEP_3) | instskip(NEXT) | instid1(VALU_DEP_3)
	v_sub_nc_u16 v69, v92, v18
	v_mul_lo_u16 v18, v57, 10
	s_delay_alu instid0(VALU_DEP_3) | instskip(SKIP_1) | instid1(VALU_DEP_3)
	v_lshrrev_b32_e32 v68, 19, v17
	v_lshlrev_b16 v17, 1, v55
	v_sub_nc_u16 v76, v91, v18
	s_delay_alu instid0(VALU_DEP_3) | instskip(NEXT) | instid1(VALU_DEP_3)
	v_mul_lo_u16 v18, v68, 10
	v_and_b32_e32 v17, 0xffff, v17
	s_delay_alu instid0(VALU_DEP_3) | instskip(NEXT) | instid1(VALU_DEP_3)
	v_lshlrev_b16 v19, 1, v76
	v_sub_nc_u16 v77, v90, v18
	v_lshlrev_b16 v18, 1, v69
	s_delay_alu instid0(VALU_DEP_4) | instskip(NEXT) | instid1(VALU_DEP_4)
	v_lshlrev_b32_e32 v17, 2, v17
	v_and_b32_e32 v19, 0xffff, v19
	s_delay_alu instid0(VALU_DEP_4) | instskip(NEXT) | instid1(VALU_DEP_4)
	v_lshlrev_b16 v20, 1, v77
	v_and_b32_e32 v18, 0xffff, v18
	s_delay_alu instid0(VALU_DEP_3) | instskip(NEXT) | instid1(VALU_DEP_3)
	v_lshlrev_b32_e32 v19, 2, v19
	v_and_b32_e32 v20, 0xffff, v20
	s_delay_alu instid0(VALU_DEP_3) | instskip(NEXT) | instid1(VALU_DEP_2)
	v_lshlrev_b32_e32 v18, 2, v18
	v_lshlrev_b32_e32 v20, 2, v20
	s_clause 0x5
	global_load_b64 v[80:81], v17, s[6:7]
	global_load_b64 v[78:79], v18, s[6:7]
	;; [unrolled: 1-line block ×6, first 2 shown]
	ds_load_2addr_b32 v[17:18], v171 offset0:162 offset1:243
	ds_load_2addr_b32 v[19:20], v177 offset0:76 offset1:157
	;; [unrolled: 1-line block ×12, first 2 shown]
	global_wb scope:SCOPE_SE
	s_wait_loadcnt_dscnt 0x0
	s_barrier_signal -1
	s_barrier_wait -1
	global_inv scope:SCOPE_SE
	ds_store_2addr_b32 v89, v12, v53 offset1:10
	v_lshrrev_b32_e32 v12, 16, v11
	scratch_store_b32 off, v89, off offset:332 ; 4-byte Folded Spill
	v_mul_f16_e64 v53, v12, v242
	s_delay_alu instid0(VALU_DEP_1) | instskip(SKIP_1) | instid1(VALU_DEP_2)
	v_fma_f16 v53, v11, v70, -v53
	v_mul_f16_e64 v11, v11, v242
	v_add_f16_e32 v10, v53, v88
	s_delay_alu instid0(VALU_DEP_2) | instskip(SKIP_2) | instid1(VALU_DEP_4)
	v_fmac_f16_e32 v11, v12, v70
	v_lshrrev_b32_e32 v12, 16, v15
	v_add_f16_e32 v47, v15, v53
	v_fmac_f16_e32 v15, -0.5, v10
	s_delay_alu instid0(VALU_DEP_4) | instskip(NEXT) | instid1(VALU_DEP_4)
	v_add_f16_e32 v87, v11, v13
	v_add_f16_e32 v10, v12, v11
	v_sub_f16_e32 v11, v11, v13
	s_delay_alu instid0(VALU_DEP_3) | instskip(NEXT) | instid1(VALU_DEP_3)
	v_fmac_f16_e32 v12, -0.5, v87
	v_add_f16_e32 v10, v10, v13
	v_add_f16_e32 v13, v47, v88
	v_sub_f16_e32 v47, v53, v88
	v_fmamk_f16 v8, v11, 0x3aee, v15
	v_fmac_f16_e32 v15, 0xbaee, v11
	v_lshrrev_b32_e32 v11, 16, v21
	v_pack_b32_f16 v4, v13, v10
	v_fmamk_f16 v10, v47, 0xbaee, v12
	v_fmac_f16_e32 v12, 0x3aee, v47
	v_lshrrev_b32_e32 v13, 16, v17
	s_delay_alu instid0(VALU_DEP_3)
	v_pack_b32_f16 v8, v8, v10
	ds_store_b32 v89, v14 offset:80
	ds_store_2addr_b32 v46, v4, v8 offset1:10
	v_lshrrev_b32_e32 v8, 16, v19
	v_mul_f16_e64 v10, v19, v195
	v_pack_b32_f16 v4, v15, v12
	v_mul_f16_e64 v12, v21, v196
	scratch_store_b32 off, v46, off offset:336 ; 4-byte Folded Spill
	v_fmac_f16_e32 v10, v8, v64
	v_mul_f16_e64 v8, v8, v195
	v_fmac_f16_e32 v12, v11, v65
	v_mul_f16_e64 v11, v11, v196
	s_delay_alu instid0(VALU_DEP_4) | instskip(NEXT) | instid1(VALU_DEP_4)
	v_add_f16_e32 v14, v13, v10
	v_fma_f16 v8, v19, v64, -v8
	s_delay_alu instid0(VALU_DEP_4)
	v_add_f16_e32 v15, v10, v12
	v_sub_f16_e32 v10, v10, v12
	v_fma_f16 v11, v21, v65, -v11
	v_add_f16_e32 v12, v14, v12
	v_add_f16_e32 v14, v17, v8
	v_fmac_f16_e32 v13, -0.5, v15
	s_delay_alu instid0(VALU_DEP_4) | instskip(SKIP_1) | instid1(VALU_DEP_4)
	v_add_f16_e32 v15, v8, v11
	v_sub_f16_e32 v8, v8, v11
	v_add_f16_e32 v14, v14, v11
	v_and_b32_e32 v11, 0xffff, v43
	s_delay_alu instid0(VALU_DEP_1) | instskip(NEXT) | instid1(VALU_DEP_1)
	v_mul_u32_u24_e32 v11, 30, v11
	v_add_lshl_u32 v19, v11, v45, 2
	s_delay_alu instid0(VALU_DEP_4)
	v_pack_b32_f16 v11, v14, v12
	v_fma_f16 v12, -0.5, v15, v17
	v_fmamk_f16 v15, v8, 0xbaee, v13
	v_fmac_f16_e32 v13, 0x3aee, v8
	v_mov_b32_e32 v21, v19
	v_lshrrev_b32_e32 v8, 16, v18
	v_fmamk_f16 v14, v10, 0x3aee, v12
	v_fmac_f16_e32 v12, 0xbaee, v10
	s_delay_alu instid0(VALU_DEP_2)
	v_pack_b32_f16 v14, v14, v15
	ds_store_b32 v46, v4 offset:80
	ds_store_2addr_b32 v19, v11, v14 offset1:10
	v_lshrrev_b32_e32 v4, 16, v20
	v_lshrrev_b32_e32 v15, 16, v22
	v_mul_f16_e64 v14, v20, v191
	v_mul_f16_e64 v19, v22, v193
	v_pack_b32_f16 v12, v12, v13
	v_mul_f16_e64 v11, v4, v191
	v_mul_f16_e64 v17, v15, v193
	v_fmac_f16_e32 v14, v4, v60
	v_fmac_f16_e32 v19, v15, v61
	ds_store_b32 v21, v12 offset:80
	v_fma_f16 v11, v20, v60, -v11
	v_fma_f16 v17, v22, v61, -v17
	v_mad_u16 v12, v41, 30, v44
	v_add_f16_e32 v15, v14, v19
	s_delay_alu instid0(VALU_DEP_4) | instskip(NEXT) | instid1(VALU_DEP_4)
	v_add_f16_e32 v10, v18, v11
	v_add_f16_e32 v4, v11, v17
	v_sub_f16_e32 v11, v11, v17
	v_and_b32_e32 v12, 0xffff, v12
	s_delay_alu instid0(VALU_DEP_4) | instskip(NEXT) | instid1(VALU_DEP_4)
	v_add_f16_e32 v10, v10, v17
	v_fmac_f16_e32 v18, -0.5, v4
	v_add_f16_e32 v4, v8, v14
	v_sub_f16_e32 v14, v14, v19
	v_fmac_f16_e32 v8, -0.5, v15
	v_lshlrev_b32_e32 v12, 2, v12
	s_delay_alu instid0(VALU_DEP_4) | instskip(NEXT) | instid1(VALU_DEP_3)
	v_add_f16_e32 v4, v4, v19
	v_fmamk_f16 v13, v11, 0xbaee, v8
	v_fmac_f16_e32 v8, 0x3aee, v11
	s_delay_alu instid0(VALU_DEP_4) | instskip(NEXT) | instid1(VALU_DEP_4)
	v_mov_b32_e32 v17, v12
	v_pack_b32_f16 v4, v10, v4
	v_fmamk_f16 v10, v14, 0x3aee, v18
	v_fmac_f16_e32 v18, 0xbaee, v14
	v_lshrrev_b32_e32 v11, 16, v27
	scratch_store_b32 off, v21, off offset:340 ; 4-byte Folded Spill
	v_pack_b32_f16 v10, v10, v13
	v_lshrrev_b32_e32 v13, 16, v23
	ds_store_2addr_b32 v12, v4, v10 offset1:10
	v_pack_b32_f16 v4, v18, v8
	v_lshrrev_b32_e32 v8, 16, v25
	ds_store_b32 v17, v4 offset:80
	v_mad_u16 v4, v54, 30, v55
	s_delay_alu instid0(VALU_DEP_1) | instskip(NEXT) | instid1(VALU_DEP_1)
	v_and_b32_e32 v4, 0xffff, v4
	v_lshlrev_b32_e32 v4, 2, v4
	s_delay_alu instid0(VALU_DEP_1)
	v_mov_b32_e32 v19, v4
	scratch_store_b32 off, v17, off offset:344 ; 4-byte Folded Spill
	v_lshrrev_b32_e32 v189, 16, v80
	v_lshrrev_b32_e32 v170, 16, v81
	;; [unrolled: 1-line block ×5, first 2 shown]
	v_mul_f16_e64 v10, v25, v189
	v_mul_f16_e64 v12, v27, v170
	v_lshrrev_b32_e32 v158, 16, v73
	v_mul_f16_e64 v18, v28, v168
	v_lshrrev_b32_e32 v164, 16, v66
	v_fmac_f16_e32 v10, v8, v80
	v_mul_f16_e64 v8, v8, v189
	v_fmac_f16_e32 v12, v11, v81
	v_mul_f16_e64 v11, v11, v170
	v_lshrrev_b32_e32 v160, 16, v67
	v_add_f16_e32 v14, v13, v10
	v_fma_f16 v8, v25, v80, -v8
	v_add_f16_e32 v15, v10, v12
	v_sub_f16_e32 v10, v10, v12
	v_fma_f16 v11, v27, v81, -v11
	v_add_f16_e32 v12, v14, v12
	v_add_f16_e32 v14, v23, v8
	v_fmac_f16_e32 v13, -0.5, v15
	v_lshrrev_b32_e32 v147, 16, v62
	v_add_f16_e32 v15, v8, v11
	v_sub_f16_e32 v8, v8, v11
	v_add_f16_e32 v14, v14, v11
	v_lshrrev_b32_e32 v152, 16, v63
	v_lshrrev_b32_e32 v146, 16, v58
	;; [unrolled: 1-line block ×3, first 2 shown]
	v_lshrrev_b16 v25, 12, v3
	v_pack_b32_f16 v11, v14, v12
	v_fma_f16 v12, -0.5, v15, v23
	v_fmamk_f16 v15, v8, 0xbaee, v13
	v_fmac_f16_e32 v13, 0x3aee, v8
	v_lshrrev_b32_e32 v8, 16, v24
	s_delay_alu instid0(VALU_DEP_4) | instskip(SKIP_1) | instid1(VALU_DEP_2)
	v_fmamk_f16 v14, v10, 0x3aee, v12
	v_fmac_f16_e32 v12, 0xbaee, v10
	v_pack_b32_f16 v14, v14, v15
	v_lshrrev_b32_e32 v15, 16, v28
	s_delay_alu instid0(VALU_DEP_3)
	v_pack_b32_f16 v12, v12, v13
	ds_store_2addr_b32 v4, v11, v14 offset1:10
	v_lshrrev_b32_e32 v4, 16, v26
	v_mul_f16_e64 v17, v15, v168
	v_mul_f16_e64 v14, v26, v185
	v_fmac_f16_e32 v18, v15, v79
	ds_store_b32 v19, v12 offset:80
	v_mul_f16_e64 v11, v4, v185
	v_fma_f16 v17, v28, v79, -v17
	v_fmac_f16_e32 v14, v4, v78
	v_mad_u16 v12, v56, 30, v69
	s_delay_alu instid0(VALU_DEP_4) | instskip(NEXT) | instid1(VALU_DEP_3)
	v_fma_f16 v11, v26, v78, -v11
	v_add_f16_e32 v15, v14, v18
	s_delay_alu instid0(VALU_DEP_3) | instskip(NEXT) | instid1(VALU_DEP_3)
	v_and_b32_e32 v12, 0xffff, v12
	v_add_f16_e32 v4, v11, v17
	v_add_f16_e32 v10, v24, v11
	v_sub_f16_e32 v11, v11, v17
	s_delay_alu instid0(VALU_DEP_4) | instskip(NEXT) | instid1(VALU_DEP_4)
	v_lshlrev_b32_e32 v12, 2, v12
	v_fmac_f16_e32 v24, -0.5, v4
	v_add_f16_e32 v4, v8, v14
	v_sub_f16_e32 v14, v14, v18
	v_fmac_f16_e32 v8, -0.5, v15
	v_add_f16_e32 v10, v10, v17
	v_mov_b32_e32 v17, v12
	v_add_f16_e32 v4, v4, v18
	scratch_store_b32 off, v19, off offset:348 ; 4-byte Folded Spill
	v_fmamk_f16 v13, v11, 0xbaee, v8
	v_fmac_f16_e32 v8, 0x3aee, v11
	v_lshrrev_b32_e32 v11, 16, v33
	v_pack_b32_f16 v4, v10, v4
	v_fmamk_f16 v10, v14, 0x3aee, v24
	v_fmac_f16_e32 v24, 0xbaee, v14
	v_mul_f16_e64 v18, v34, v160
	s_delay_alu instid0(VALU_DEP_3)
	v_pack_b32_f16 v10, v10, v13
	v_lshrrev_b32_e32 v13, 16, v29
	ds_store_2addr_b32 v12, v4, v10 offset1:10
	v_pack_b32_f16 v4, v24, v8
	v_lshrrev_b32_e32 v8, 16, v31
	v_mul_f16_e64 v10, v31, v159
	v_mul_f16_e64 v12, v33, v158
	ds_store_b32 v17, v4 offset:80
	v_mad_u16 v4, v57, 30, v76
	v_fmac_f16_e32 v10, v8, v72
	v_mul_f16_e64 v8, v8, v159
	v_fmac_f16_e32 v12, v11, v73
	v_mul_f16_e64 v11, v11, v158
	v_and_b32_e32 v4, 0xffff, v4
	v_add_f16_e32 v14, v13, v10
	v_fma_f16 v8, v31, v72, -v8
	v_add_f16_e32 v15, v10, v12
	v_sub_f16_e32 v10, v10, v12
	v_fma_f16 v11, v33, v73, -v11
	v_add_f16_e32 v12, v14, v12
	v_add_f16_e32 v14, v29, v8
	v_fmac_f16_e32 v13, -0.5, v15
	v_lshlrev_b32_e32 v4, 2, v4
	v_add_f16_e32 v15, v8, v11
	v_sub_f16_e32 v8, v8, v11
	v_add_f16_e32 v14, v14, v11
	s_delay_alu instid0(VALU_DEP_4)
	v_mov_b32_e32 v19, v4
	scratch_store_b32 off, v17, off offset:352 ; 4-byte Folded Spill
	v_pack_b32_f16 v11, v14, v12
	v_fma_f16 v12, -0.5, v15, v29
	v_fmamk_f16 v15, v8, 0xbaee, v13
	v_fmac_f16_e32 v13, 0x3aee, v8
	v_lshrrev_b32_e32 v8, 16, v30
	s_delay_alu instid0(VALU_DEP_4) | instskip(SKIP_1) | instid1(VALU_DEP_2)
	v_fmamk_f16 v14, v10, 0x3aee, v12
	v_fmac_f16_e32 v12, 0xbaee, v10
	v_pack_b32_f16 v14, v14, v15
	v_lshrrev_b32_e32 v15, 16, v34
	s_delay_alu instid0(VALU_DEP_3)
	v_pack_b32_f16 v12, v12, v13
	ds_store_2addr_b32 v4, v11, v14 offset1:10
	v_lshrrev_b32_e32 v4, 16, v32
	v_mul_f16_e64 v17, v15, v160
	v_mul_f16_e64 v14, v32, v164
	v_fmac_f16_e32 v18, v15, v67
	ds_store_b32 v19, v12 offset:80
	v_mul_f16_e64 v11, v4, v164
	v_fma_f16 v17, v34, v67, -v17
	v_fmac_f16_e32 v14, v4, v66
	v_mad_u16 v12, v68, 30, v77
	s_delay_alu instid0(VALU_DEP_4) | instskip(NEXT) | instid1(VALU_DEP_3)
	v_fma_f16 v11, v32, v66, -v11
	v_add_f16_e32 v15, v14, v18
	s_delay_alu instid0(VALU_DEP_3) | instskip(NEXT) | instid1(VALU_DEP_3)
	v_and_b32_e32 v12, 0xffff, v12
	v_add_f16_e32 v4, v11, v17
	v_add_f16_e32 v10, v30, v11
	v_sub_f16_e32 v11, v11, v17
	s_delay_alu instid0(VALU_DEP_4) | instskip(NEXT) | instid1(VALU_DEP_4)
	v_lshlrev_b32_e32 v12, 2, v12
	v_fmac_f16_e32 v30, -0.5, v4
	v_add_f16_e32 v4, v8, v14
	v_sub_f16_e32 v14, v14, v18
	v_fmac_f16_e32 v8, -0.5, v15
	v_add_f16_e32 v10, v10, v17
	v_mov_b32_e32 v17, v12
	v_add_f16_e32 v4, v4, v18
	scratch_store_b32 off, v19, off offset:356 ; 4-byte Folded Spill
	v_fmamk_f16 v13, v11, 0xbaee, v8
	v_fmac_f16_e32 v8, 0x3aee, v11
	scratch_store_b32 off, v17, off offset:360 ; 4-byte Folded Spill
	v_pack_b32_f16 v4, v10, v4
	v_fmamk_f16 v10, v14, 0x3aee, v30
	v_fmac_f16_e32 v30, 0xbaee, v14
	v_lshrrev_b32_e32 v11, 16, v39
	v_mul_f16_e64 v18, v40, v151
	s_delay_alu instid0(VALU_DEP_4)
	v_pack_b32_f16 v10, v10, v13
	v_lshrrev_b32_e32 v13, 16, v35
	ds_store_2addr_b32 v12, v4, v10 offset1:10
	v_pack_b32_f16 v4, v30, v8
	v_lshrrev_b32_e32 v8, 16, v37
	v_mul_f16_e64 v10, v37, v147
	v_mul_f16_e64 v12, v39, v152
	ds_store_b32 v17, v4 offset:80
	v_mad_u16 v4, v82, 30, v85
	v_fmac_f16_e32 v10, v8, v62
	v_mul_f16_e64 v8, v8, v147
	v_fmac_f16_e32 v12, v11, v63
	v_mul_f16_e64 v11, v11, v152
	v_and_b32_e32 v4, 0xffff, v4
	v_add_f16_e32 v14, v13, v10
	v_fma_f16 v8, v37, v62, -v8
	v_add_f16_e32 v15, v10, v12
	v_sub_f16_e32 v10, v10, v12
	v_fma_f16 v11, v39, v63, -v11
	v_add_f16_e32 v12, v14, v12
	v_add_f16_e32 v14, v35, v8
	v_fmac_f16_e32 v13, -0.5, v15
	v_lshlrev_b32_e32 v4, 2, v4
	v_add_f16_e32 v15, v8, v11
	v_sub_f16_e32 v8, v8, v11
	v_add_f16_e32 v14, v14, v11
	v_mov_b32_e32 v39, v205
	v_mov_b32_e32 v21, v4
	v_mul_lo_u16 v2, 0x89, v2
	s_delay_alu instid0(VALU_DEP_4) | instskip(SKIP_3) | instid1(VALU_DEP_3)
	v_pack_b32_f16 v11, v14, v12
	v_fma_f16 v12, -0.5, v15, v35
	v_fmamk_f16 v15, v8, 0xbaee, v13
	v_fmac_f16_e32 v13, 0x3aee, v8
	v_fmamk_f16 v14, v10, 0x3aee, v12
	v_fmac_f16_e32 v12, 0xbaee, v10
	s_delay_alu instid0(VALU_DEP_2) | instskip(SKIP_1) | instid1(VALU_DEP_3)
	v_pack_b32_f16 v14, v14, v15
	v_lshrrev_b32_e32 v15, 16, v40
	v_pack_b32_f16 v10, v12, v13
	v_mad_u16 v13, v83, 30, v86
	ds_store_2addr_b32 v4, v11, v14 offset1:10
	v_lshrrev_b32_e32 v4, 16, v38
	v_mul_f16_e64 v17, v15, v151
	v_mul_f16_e64 v14, v38, v146
	v_fmac_f16_e32 v18, v15, v59
	v_lshrrev_b32_e32 v15, 16, v36
	v_mul_f16_e64 v11, v4, v146
	v_fma_f16 v17, v40, v59, -v17
	v_fmac_f16_e32 v14, v4, v58
	ds_store_b32 v21, v10 offset:80
	v_fma_f16 v11, v38, v58, -v11
	s_delay_alu instid0(VALU_DEP_1) | instskip(SKIP_1) | instid1(VALU_DEP_2)
	v_add_f16_e32 v4, v11, v17
	v_add_f16_e32 v19, v36, v11
	v_fmac_f16_e32 v36, -0.5, v4
	v_sub_f16_e32 v4, v14, v18
	s_delay_alu instid0(VALU_DEP_3) | instskip(NEXT) | instid1(VALU_DEP_2)
	v_add_f16_e32 v8, v19, v17
	v_fmamk_f16 v20, v4, 0x3aee, v36
	v_fmac_f16_e32 v36, 0xbaee, v4
	v_add_f16_e32 v4, v14, v18
	v_add_f16_e32 v14, v15, v14
	s_delay_alu instid0(VALU_DEP_2) | instskip(SKIP_1) | instid1(VALU_DEP_3)
	v_fmac_f16_e32 v15, -0.5, v4
	v_sub_f16_e32 v4, v11, v17
	v_add_f16_e32 v12, v14, v18
	s_delay_alu instid0(VALU_DEP_2) | instskip(SKIP_1) | instid1(VALU_DEP_3)
	v_fmamk_f16 v11, v4, 0xbaee, v15
	v_fmac_f16_e32 v15, 0x3aee, v4
	v_pack_b32_f16 v8, v8, v12
	s_delay_alu instid0(VALU_DEP_3) | instskip(SKIP_1) | instid1(VALU_DEP_4)
	v_pack_b32_f16 v10, v20, v11
	v_and_b32_e32 v11, 0xffff, v13
	v_pack_b32_f16 v4, v36, v15
	s_delay_alu instid0(VALU_DEP_2)
	v_lshlrev_b32_e32 v11, 2, v11
	s_clause 0x1
	scratch_store_b32 off, v21, off offset:368
	scratch_store_b32 off, v11, off offset:364
	ds_store_2addr_b32 v11, v8, v10 offset1:10
	ds_store_b32 v11, v4 offset:80
	v_lshrrev_b16 v4, 12, v2
	global_wb scope:SCOPE_SE
	s_wait_storecnt_dscnt 0x0
	s_barrier_signal -1
	s_barrier_wait -1
	global_inv scope:SCOPE_SE
	v_mul_lo_u16 v2, v4, 30
	v_and_b32_e32 v4, 0xffff, v4
	s_delay_alu instid0(VALU_DEP_2) | instskip(NEXT) | instid1(VALU_DEP_2)
	v_sub_nc_u16 v2, v84, v2
	v_mul_u32_u24_e32 v4, 0x5a, v4
	s_delay_alu instid0(VALU_DEP_2) | instskip(SKIP_1) | instid1(VALU_DEP_2)
	v_and_b32_e32 v8, 0xff, v2
	v_mul_lo_u16 v2, 0x89, v9
	v_add_lshl_u32 v28, v4, v8, 2
	s_delay_alu instid0(VALU_DEP_2) | instskip(SKIP_1) | instid1(VALU_DEP_2)
	v_lshrrev_b16 v26, 12, v2
	v_mul_lo_u16 v2, v25, 30
	v_mul_lo_u16 v3, v26, 30
	s_delay_alu instid0(VALU_DEP_2) | instskip(NEXT) | instid1(VALU_DEP_2)
	v_sub_nc_u16 v2, v1, v2
	v_sub_nc_u16 v3, v48, v3
	s_delay_alu instid0(VALU_DEP_2) | instskip(SKIP_1) | instid1(VALU_DEP_3)
	v_and_b32_e32 v27, 0xff, v2
	v_lshlrev_b32_e32 v2, 3, v8
	v_and_b32_e32 v43, 0xff, v3
	global_load_b64 v[227:228], v2, s[6:7] offset:80
	v_lshlrev_b32_e32 v2, 3, v27
	v_lshlrev_b32_e32 v3, 3, v43
	s_clause 0x1
	global_load_b64 v[223:224], v2, s[6:7] offset:80
	global_load_b64 v[221:222], v3, s[6:7] offset:80
	ds_load_2addr_b32 v[2:3], v145 offset0:42 offset1:123
	ds_load_2addr_b32 v[12:13], v171 offset1:81
	s_wait_dscnt 0x1
	v_lshrrev_b32_e32 v14, 16, v2
	s_wait_dscnt 0x0
	v_lshrrev_b32_e32 v57, 16, v12
	s_wait_loadcnt 0x2
	v_lshrrev_b32_e32 v10, 16, v227
	v_lshrrev_b32_e32 v21, 16, v228
	s_delay_alu instid0(VALU_DEP_2)
	v_mul_f16_e32 v15, v2, v10
	v_mov_b32_e32 v22, v10
	ds_load_2addr_b32 v[10:11], v166 offset0:84 offset1:165
	s_wait_loadcnt 0x1
	v_lshrrev_b32_e32 v247, 16, v223
	v_lshrrev_b32_e32 v29, 16, v224
	v_fmac_f16_e64 v15, v14, v227
	v_mul_f16_e32 v14, v14, v22
	s_wait_loadcnt 0x0
	v_lshrrev_b32_e32 v249, 16, v221
	v_lshrrev_b32_e32 v248, 16, v222
	v_add_f16_e32 v19, v57, v15
	v_fma_f16 v2, v2, v227, -v14
	s_delay_alu instid0(VALU_DEP_1) | instskip(SKIP_3) | instid1(VALU_DEP_1)
	v_add_f16_e32 v14, v12, v2
	s_wait_dscnt 0x0
	v_lshrrev_b32_e32 v17, 16, v10
	v_mul_f16_e32 v18, v10, v21
	v_fmac_f16_e64 v18, v17, v228
	v_mul_f16_e32 v17, v17, v21
	v_mul_u32_u24_e32 v21, 0x8889, v51
	s_delay_alu instid0(VALU_DEP_3) | instskip(NEXT) | instid1(VALU_DEP_3)
	v_add_f16_e32 v20, v15, v18
	v_fma_f16 v10, v10, v228, -v17
	v_sub_f16_e32 v89, v15, v18
	v_add_f16_e32 v15, v19, v18
	v_lshrrev_b32_e32 v105, 20, v21
	v_fmac_f16_e32 v57, -0.5, v20
	v_add_f16_e32 v17, v2, v10
	v_sub_f16_e32 v2, v2, v10
	v_add_f16_e32 v14, v14, v10
	v_mul_u32_u24_e32 v21, 0x8889, v52
	s_delay_alu instid0(VALU_DEP_4) | instskip(NEXT) | instid1(VALU_DEP_4)
	v_fma_f16 v8, -0.5, v17, v12
	v_fmamk_f16 v12, v2, 0xbaee, v57
	s_delay_alu instid0(VALU_DEP_4) | instskip(NEXT) | instid1(VALU_DEP_4)
	v_pack_b32_f16 v4, v14, v15
	v_lshrrev_b32_e32 v106, 20, v21
	v_mul_lo_u16 v21, v105, 30
	v_fmamk_f16 v10, v89, 0x3aee, v8
	v_fmac_f16_e32 v57, 0x3aee, v2
	v_fmac_f16_e32 v8, 0xbaee, v89
	s_delay_alu instid0(VALU_DEP_4) | instskip(NEXT) | instid1(VALU_DEP_4)
	v_sub_nc_u16 v107, v99, v21
	v_pack_b32_f16 v10, v10, v12
	v_mul_u32_u24_e32 v12, 0x8889, v7
	v_mul_lo_u16 v21, v106, 30
	v_pack_b32_f16 v8, v8, v57
	s_delay_alu instid0(VALU_DEP_3) | instskip(NEXT) | instid1(VALU_DEP_3)
	v_lshrrev_b32_e32 v12, 20, v12
	v_sub_nc_u16 v108, v98, v21
	v_lshlrev_b16 v21, 3, v107
	s_delay_alu instid0(VALU_DEP_3) | instskip(NEXT) | instid1(VALU_DEP_3)
	v_mul_lo_u16 v14, v12, 30
	v_lshlrev_b16 v22, 3, v108
	s_delay_alu instid0(VALU_DEP_3) | instskip(NEXT) | instid1(VALU_DEP_3)
	v_and_b32_e32 v21, 0xffff, v21
	v_sub_nc_u16 v94, v0, v14
	s_delay_alu instid0(VALU_DEP_3) | instskip(NEXT) | instid1(VALU_DEP_2)
	v_and_b32_e32 v23, 0xffff, v22
	v_lshlrev_b16 v14, 3, v94
	s_delay_alu instid0(VALU_DEP_1) | instskip(NEXT) | instid1(VALU_DEP_1)
	v_and_b32_e32 v14, 0xffff, v14
	v_add_co_u32 v14, s2, s6, v14
	s_wait_alu 0xf1ff
	v_add_co_ci_u32_e64 v15, null, s7, 0, s2
	global_load_b64 v[229:230], v[14:15], off offset:80
	v_mul_u32_u24_e32 v14, 0x8889, v5
	s_delay_alu instid0(VALU_DEP_1) | instskip(NEXT) | instid1(VALU_DEP_1)
	v_lshrrev_b32_e32 v95, 20, v14
	v_mul_lo_u16 v14, v95, 30
	s_delay_alu instid0(VALU_DEP_1) | instskip(SKIP_1) | instid1(VALU_DEP_1)
	v_sub_nc_u16 v96, v93, v14
	v_mul_u32_u24_e32 v14, 0x8889, v6
	v_lshrrev_b32_e32 v97, 20, v14
	s_delay_alu instid0(VALU_DEP_3) | instskip(NEXT) | instid1(VALU_DEP_2)
	v_lshlrev_b16 v14, 3, v96
	v_mul_lo_u16 v15, v97, 30
	s_delay_alu instid0(VALU_DEP_2) | instskip(NEXT) | instid1(VALU_DEP_2)
	v_and_b32_e32 v14, 0xffff, v14
	v_sub_nc_u16 v100, v92, v15
	s_delay_alu instid0(VALU_DEP_2) | instskip(SKIP_2) | instid1(VALU_DEP_3)
	v_add_co_u32 v14, s2, s6, v14
	s_wait_alu 0xf1ff
	v_add_co_ci_u32_e64 v15, null, s7, 0, s2
	v_lshlrev_b16 v17, 3, v100
	global_load_b64 v[225:226], v[14:15], off offset:80
	v_and_b32_e32 v17, 0xffff, v17
	s_delay_alu instid0(VALU_DEP_1) | instskip(SKIP_3) | instid1(VALU_DEP_2)
	v_add_co_u32 v14, s2, s6, v17
	v_mul_u32_u24_e32 v17, 0x8889, v49
	s_wait_alu 0xf1ff
	v_add_co_ci_u32_e64 v15, null, s7, 0, s2
	v_lshrrev_b32_e32 v101, 20, v17
	v_mul_u32_u24_e32 v17, 0x8889, v50
	s_delay_alu instid0(VALU_DEP_1) | instskip(NEXT) | instid1(VALU_DEP_3)
	v_lshrrev_b32_e32 v102, 20, v17
	v_mul_lo_u16 v17, v101, 30
	s_delay_alu instid0(VALU_DEP_1) | instskip(NEXT) | instid1(VALU_DEP_3)
	v_sub_nc_u16 v103, v91, v17
	v_mul_lo_u16 v17, v102, 30
	s_delay_alu instid0(VALU_DEP_1) | instskip(NEXT) | instid1(VALU_DEP_3)
	v_sub_nc_u16 v104, v90, v17
	v_lshlrev_b16 v17, 3, v103
	s_delay_alu instid0(VALU_DEP_2) | instskip(NEXT) | instid1(VALU_DEP_2)
	v_lshlrev_b16 v18, 3, v104
	v_and_b32_e32 v17, 0xffff, v17
	s_delay_alu instid0(VALU_DEP_2) | instskip(NEXT) | instid1(VALU_DEP_2)
	v_and_b32_e32 v19, 0xffff, v18
	v_add_co_u32 v17, s2, s6, v17
	s_wait_alu 0xf1ff
	v_add_co_ci_u32_e64 v18, null, s7, 0, s2
	s_delay_alu instid0(VALU_DEP_3)
	v_add_co_u32 v19, s2, s6, v19
	s_wait_alu 0xf1ff
	v_add_co_ci_u32_e64 v20, null, s7, 0, s2
	v_add_co_u32 v21, s2, s6, v21
	s_wait_alu 0xf1ff
	v_add_co_ci_u32_e64 v22, null, s7, 0, s2
	;; [unrolled: 3-line block ×3, first 2 shown]
	s_clause 0x4
	global_load_b64 v[235:236], v[14:15], off offset:80
	global_load_b64 v[231:232], v[17:18], off offset:80
	;; [unrolled: 1-line block ×5, first 2 shown]
	ds_load_2addr_b32 v[14:15], v171 offset0:162 offset1:243
	ds_load_2addr_b32 v[17:18], v177 offset0:76 offset1:157
	;; [unrolled: 1-line block ×12, first 2 shown]
	global_wb scope:SCOPE_SE
	s_wait_loadcnt_dscnt 0x0
	s_barrier_signal -1
	s_barrier_wait -1
	global_inv scope:SCOPE_SE
	ds_store_2addr_b32 v28, v4, v10 offset1:30
	v_lshrrev_b32_e32 v4, 16, v3
	v_lshrrev_b32_e32 v23, 16, v11
	scratch_store_b32 off, v28, off offset:292 ; 4-byte Folded Spill
	v_mul_f16_e64 v10, v4, v247
	v_mul_f16_e32 v24, v23, v29
	s_delay_alu instid0(VALU_DEP_2) | instskip(SKIP_1) | instid1(VALU_DEP_3)
	v_fma_f16 v10, v3, v223, -v10
	v_mul_f16_e64 v3, v3, v247
	v_fma_f16 v24, v11, v224, -v24
	v_mul_f16_e32 v11, v11, v29
	s_delay_alu instid0(VALU_DEP_3) | instskip(NEXT) | instid1(VALU_DEP_3)
	v_fmac_f16_e64 v3, v4, v223
	v_add_f16_e32 v2, v10, v24
	v_lshrrev_b32_e32 v4, 16, v13
	s_delay_alu instid0(VALU_DEP_4)
	v_fmac_f16_e64 v11, v23, v224
	v_add_f16_e32 v23, v13, v10
	v_sub_f16_e32 v10, v10, v24
	v_fmac_f16_e32 v13, -0.5, v2
	v_add_f16_e32 v2, v4, v3
	v_add_f16_e32 v89, v3, v11
	v_sub_f16_e32 v3, v3, v11
	s_delay_alu instid0(VALU_DEP_3) | instskip(SKIP_3) | instid1(VALU_DEP_3)
	v_add_f16_e32 v2, v2, v11
	v_add_f16_e32 v11, v23, v24
	v_and_b32_e32 v23, 0xffff, v25
	v_fmac_f16_e32 v4, -0.5, v89
	v_pack_b32_f16 v2, v11, v2
	s_delay_alu instid0(VALU_DEP_3) | instskip(SKIP_3) | instid1(VALU_DEP_4)
	v_mul_u32_u24_e32 v23, 0x5a, v23
	v_fmamk_f16 v11, v3, 0x3aee, v13
	v_fmac_f16_e32 v13, 0xbaee, v3
	v_lshrrev_b32_e32 v3, 16, v17
	v_add_lshl_u32 v24, v23, v27, 2
	v_fmamk_f16 v23, v10, 0xbaee, v4
	v_fmac_f16_e32 v4, 0x3aee, v10
	v_mul_f16_e64 v10, v19, v248
	s_delay_alu instid0(VALU_DEP_3)
	v_pack_b32_f16 v11, v11, v23
	ds_store_b32 v28, v8 offset:240
	ds_store_2addr_b32 v24, v2, v11 offset1:30
	v_pack_b32_f16 v2, v13, v4
	v_mul_f16_e64 v4, v17, v249
	v_lshrrev_b32_e32 v8, 16, v19
	v_lshrrev_b32_e32 v11, 16, v14
	scratch_store_b32 off, v24, off offset:296 ; 4-byte Folded Spill
	v_fmac_f16_e64 v4, v3, v221
	v_mul_f16_e64 v3, v3, v249
	v_fmac_f16_e64 v10, v8, v222
	v_mul_f16_e64 v8, v8, v248
	s_delay_alu instid0(VALU_DEP_4) | instskip(NEXT) | instid1(VALU_DEP_4)
	v_add_f16_e32 v13, v11, v4
	v_fma_f16 v3, v17, v221, -v3
	s_delay_alu instid0(VALU_DEP_4)
	v_add_f16_e32 v23, v4, v10
	v_sub_f16_e32 v4, v4, v10
	v_fma_f16 v8, v19, v222, -v8
	v_add_f16_e32 v10, v13, v10
	v_add_f16_e32 v13, v14, v3
	v_fmac_f16_e32 v11, -0.5, v23
	s_delay_alu instid0(VALU_DEP_4) | instskip(SKIP_1) | instid1(VALU_DEP_4)
	v_add_f16_e32 v17, v3, v8
	v_sub_f16_e32 v3, v3, v8
	v_add_f16_e32 v13, v13, v8
	v_and_b32_e32 v8, 0xffff, v26
	s_delay_alu instid0(VALU_DEP_1) | instskip(NEXT) | instid1(VALU_DEP_1)
	v_mul_u32_u24_e32 v8, 0x5a, v8
	v_add_lshl_u32 v19, v8, v43, 2
	s_delay_alu instid0(VALU_DEP_4) | instskip(SKIP_4) | instid1(VALU_DEP_4)
	v_pack_b32_f16 v8, v13, v10
	v_fma_f16 v10, -0.5, v17, v14
	v_fmamk_f16 v14, v3, 0xbaee, v11
	v_fmac_f16_e32 v11, 0x3aee, v3
	v_lshrrev_b32_e32 v3, 16, v15
	v_fmamk_f16 v13, v4, 0x3aee, v10
	v_fmac_f16_e32 v10, 0xbaee, v4
	s_delay_alu instid0(VALU_DEP_2)
	v_pack_b32_f16 v13, v13, v14
	ds_store_b32 v24, v2 offset:240
	ds_store_2addr_b32 v19, v8, v13 offset1:30
	v_lshrrev_b32_e32 v2, 16, v18
	v_lshrrev_b32_e32 v14, 16, v20
	v_pack_b32_f16 v10, v10, v11
	ds_store_b32 v19, v10 offset:240
	v_mad_u16 v10, 0x5a, v12, v94
	s_delay_alu instid0(VALU_DEP_1) | instskip(NEXT) | instid1(VALU_DEP_1)
	v_and_b32_e32 v10, 0xffff, v10
	v_lshlrev_b32_e32 v10, 2, v10
	v_lshrrev_b32_e32 v251, 16, v229
	v_lshrrev_b32_e32 v250, 16, v230
	s_delay_alu instid0(VALU_DEP_2) | instskip(NEXT) | instid1(VALU_DEP_2)
	v_mul_f16_e64 v8, v2, v251
	v_mul_f16_e64 v17, v14, v250
	;; [unrolled: 1-line block ×3, first 2 shown]
	s_delay_alu instid0(VALU_DEP_3) | instskip(NEXT) | instid1(VALU_DEP_3)
	v_fma_f16 v8, v18, v229, -v8
	v_fma_f16 v17, v20, v230, -v17
	v_mul_f16_e64 v18, v20, v250
	s_delay_alu instid0(VALU_DEP_4) | instskip(NEXT) | instid1(VALU_DEP_4)
	v_fmac_f16_e64 v13, v2, v229
	v_add_f16_e32 v4, v15, v8
	s_delay_alu instid0(VALU_DEP_4) | instskip(NEXT) | instid1(VALU_DEP_4)
	v_add_f16_e32 v2, v8, v17
	v_fmac_f16_e64 v18, v14, v230
	v_sub_f16_e32 v8, v8, v17
	s_delay_alu instid0(VALU_DEP_4) | instskip(NEXT) | instid1(VALU_DEP_4)
	v_add_f16_e32 v4, v4, v17
	v_fmac_f16_e32 v15, -0.5, v2
	v_add_f16_e32 v2, v3, v13
	v_add_f16_e32 v14, v13, v18
	v_sub_f16_e32 v13, v13, v18
	s_delay_alu instid0(VALU_DEP_3) | instskip(NEXT) | instid1(VALU_DEP_3)
	v_add_f16_e32 v2, v2, v18
	v_fmac_f16_e32 v3, -0.5, v14
	v_mov_b32_e32 v14, v10
	scratch_store_b32 off, v19, off offset:300 ; 4-byte Folded Spill
	v_pack_b32_f16 v2, v4, v2
	v_fmamk_f16 v4, v13, 0x3aee, v15
	v_fmamk_f16 v11, v8, 0xbaee, v3
	v_fmac_f16_e32 v15, 0xbaee, v13
	v_fmac_f16_e32 v3, 0x3aee, v8
	v_lshrrev_b32_e32 v8, 16, v53
	s_delay_alu instid0(VALU_DEP_4)
	v_pack_b32_f16 v4, v4, v11
	v_lshrrev_b32_e32 v255, 16, v225
	v_lshrrev_b32_e32 v254, 16, v226
	;; [unrolled: 1-line block ×3, first 2 shown]
	ds_store_2addr_b32 v10, v2, v4 offset1:30
	v_pack_b32_f16 v2, v15, v3
	v_lshrrev_b32_e32 v3, 16, v46
	v_mul_f16_e64 v4, v46, v255
	v_mul_f16_e64 v10, v53, v254
	ds_store_b32 v14, v2 offset:240
	v_mad_u16 v2, 0x5a, v95, v96
	v_fmac_f16_e64 v4, v3, v225
	v_mul_f16_e64 v3, v3, v255
	v_fmac_f16_e64 v10, v8, v226
	v_mul_f16_e64 v8, v8, v254
	v_and_b32_e32 v2, 0xffff, v2
	v_add_f16_e32 v12, v11, v4
	v_fma_f16 v3, v46, v225, -v3
	v_add_f16_e32 v13, v4, v10
	v_sub_f16_e32 v4, v4, v10
	v_fma_f16 v8, v53, v226, -v8
	v_add_f16_e32 v10, v12, v10
	v_add_f16_e32 v12, v21, v3
	v_fmac_f16_e32 v11, -0.5, v13
	v_lshlrev_b32_e32 v2, 2, v2
	v_add_f16_e32 v13, v3, v8
	v_sub_f16_e32 v3, v3, v8
	v_add_f16_e32 v12, v12, v8
	s_delay_alu instid0(VALU_DEP_4)
	v_mov_b32_e32 v17, v2
	scratch_store_b32 off, v14, off offset:304 ; 4-byte Folded Spill
	v_pack_b32_f16 v8, v12, v10
	v_fma_f16 v10, -0.5, v13, v21
	v_fmamk_f16 v13, v3, 0xbaee, v11
	v_fmac_f16_e32 v11, 0x3aee, v3
	v_lshrrev_b32_e32 v3, 16, v22
	s_delay_alu instid0(VALU_DEP_4) | instskip(SKIP_1) | instid1(VALU_DEP_2)
	v_fmamk_f16 v12, v4, 0x3aee, v10
	v_fmac_f16_e32 v10, 0xbaee, v4
	v_pack_b32_f16 v12, v12, v13
	v_lshrrev_b32_e32 v13, 16, v54
	s_delay_alu instid0(VALU_DEP_3)
	v_pack_b32_f16 v10, v10, v11
	ds_store_2addr_b32 v2, v8, v12 offset1:30
	v_lshrrev_b32_e32 v2, 16, v47
	ds_store_b32 v17, v10 offset:240
	v_mad_u16 v10, 0x5a, v97, v100
	v_lshrrev_b32_e32 v245, 16, v235
	v_lshrrev_b32_e32 v246, 16, v236
	s_delay_alu instid0(VALU_DEP_3)
	v_and_b32_e32 v10, 0xffff, v10
	v_lshrrev_b32_e32 v234, 16, v231
	v_lshrrev_b32_e32 v239, 16, v232
	v_mul_f16_e64 v8, v2, v245
	v_mul_f16_e64 v14, v13, v246
	v_mul_f16_e64 v12, v47, v245
	v_mul_f16_e64 v15, v54, v246
	v_lshlrev_b32_e32 v10, 2, v10
	v_fma_f16 v8, v47, v235, -v8
	v_fma_f16 v14, v54, v236, -v14
	v_fmac_f16_e64 v12, v2, v235
	v_fmac_f16_e64 v15, v13, v236
	v_lshrrev_b32_e32 v197, 16, v219
	v_add_f16_e32 v4, v22, v8
	v_add_f16_e32 v2, v8, v14
	v_sub_f16_e32 v8, v8, v14
	v_add_f16_e32 v13, v12, v15
	v_lshrrev_b32_e32 v199, 16, v220
	v_add_f16_e32 v4, v4, v14
	v_fmac_f16_e32 v22, -0.5, v2
	v_add_f16_e32 v2, v3, v12
	v_sub_f16_e32 v12, v12, v15
	v_fmac_f16_e32 v3, -0.5, v13
	v_mov_b32_e32 v14, v10
	scratch_store_b32 off, v17, off offset:308 ; 4-byte Folded Spill
	v_add_f16_e32 v2, v2, v15
	v_mul_f16_e64 v15, v77, v199
	v_fmamk_f16 v11, v8, 0xbaee, v3
	v_fmac_f16_e32 v3, 0x3aee, v8
	v_lshrrev_b32_e32 v8, 16, v76
	v_pack_b32_f16 v2, v4, v2
	v_fmamk_f16 v4, v12, 0x3aee, v22
	v_fmac_f16_e32 v22, 0xbaee, v12
	v_lshrrev_b32_e32 v188, 16, v116
	v_lshrrev_b32_e32 v190, 16, v117
	v_lshrrev_b32_e32 v208, 16, v118
	v_pack_b32_f16 v4, v4, v11
	v_lshrrev_b32_e32 v11, 16, v55
	v_lshrrev_b32_e32 v214, 16, v119
	ds_store_2addr_b32 v10, v2, v4 offset1:30
	v_pack_b32_f16 v2, v22, v3
	v_lshrrev_b32_e32 v3, 16, v68
	v_mul_f16_e64 v4, v68, v234
	v_mul_f16_e64 v10, v76, v239
	ds_store_b32 v14, v2 offset:240
	v_mad_u16 v2, 0x5a, v101, v103
	v_fmac_f16_e64 v4, v3, v231
	v_mul_f16_e64 v3, v3, v234
	v_fmac_f16_e64 v10, v8, v232
	v_mul_f16_e64 v8, v8, v239
	v_and_b32_e32 v2, 0xffff, v2
	v_add_f16_e32 v12, v11, v4
	v_fma_f16 v3, v68, v231, -v3
	v_add_f16_e32 v13, v4, v10
	v_sub_f16_e32 v4, v4, v10
	v_fma_f16 v8, v76, v232, -v8
	v_add_f16_e32 v10, v12, v10
	v_add_f16_e32 v12, v55, v3
	v_fmac_f16_e32 v11, -0.5, v13
	v_lshlrev_b32_e32 v2, 2, v2
	v_add_f16_e32 v13, v3, v8
	v_sub_f16_e32 v3, v3, v8
	v_add_f16_e32 v12, v12, v8
	s_delay_alu instid0(VALU_DEP_4)
	v_mov_b32_e32 v17, v2
	scratch_store_b32 off, v14, off offset:312 ; 4-byte Folded Spill
	v_pack_b32_f16 v8, v12, v10
	v_fma_f16 v10, -0.5, v13, v55
	v_fmamk_f16 v13, v3, 0xbaee, v11
	v_fmac_f16_e32 v11, 0x3aee, v3
	v_lshrrev_b32_e32 v3, 16, v56
	s_delay_alu instid0(VALU_DEP_4) | instskip(SKIP_1) | instid1(VALU_DEP_2)
	v_fmamk_f16 v12, v4, 0x3aee, v10
	v_fmac_f16_e32 v10, 0xbaee, v4
	v_pack_b32_f16 v12, v12, v13
	v_lshrrev_b32_e32 v13, 16, v77
	s_delay_alu instid0(VALU_DEP_3)
	v_pack_b32_f16 v10, v10, v11
	ds_store_2addr_b32 v2, v8, v12 offset1:30
	v_lshrrev_b32_e32 v2, 16, v69
	v_mul_f16_e64 v14, v13, v199
	v_mul_f16_e64 v12, v69, v197
	v_fmac_f16_e64 v15, v13, v220
	ds_store_b32 v17, v10 offset:240
	v_mul_f16_e64 v8, v2, v197
	v_fma_f16 v14, v77, v220, -v14
	v_fmac_f16_e64 v12, v2, v219
	v_mad_u16 v10, 0x5a, v102, v104
	s_delay_alu instid0(VALU_DEP_4) | instskip(NEXT) | instid1(VALU_DEP_3)
	v_fma_f16 v8, v69, v219, -v8
	v_add_f16_e32 v13, v12, v15
	s_delay_alu instid0(VALU_DEP_3) | instskip(NEXT) | instid1(VALU_DEP_3)
	v_and_b32_e32 v10, 0xffff, v10
	v_add_f16_e32 v2, v8, v14
	v_add_f16_e32 v4, v56, v8
	v_sub_f16_e32 v8, v8, v14
	s_delay_alu instid0(VALU_DEP_4) | instskip(NEXT) | instid1(VALU_DEP_4)
	v_lshlrev_b32_e32 v10, 2, v10
	v_fmac_f16_e32 v56, -0.5, v2
	v_add_f16_e32 v2, v3, v12
	v_sub_f16_e32 v12, v12, v15
	v_fmac_f16_e32 v3, -0.5, v13
	v_add_f16_e32 v4, v4, v14
	v_mov_b32_e32 v14, v10
	v_add_f16_e32 v2, v2, v15
	scratch_store_b32 off, v17, off offset:316 ; 4-byte Folded Spill
	v_fmamk_f16 v11, v8, 0xbaee, v3
	v_fmac_f16_e32 v3, 0x3aee, v8
	v_lshrrev_b32_e32 v8, 16, v87
	v_pack_b32_f16 v2, v4, v2
	v_fmamk_f16 v4, v12, 0x3aee, v56
	v_fmac_f16_e32 v56, 0xbaee, v12
	v_mul_f16_e64 v15, v88, v214
	s_delay_alu instid0(VALU_DEP_3)
	v_pack_b32_f16 v4, v4, v11
	v_lshrrev_b32_e32 v11, 16, v82
	ds_store_2addr_b32 v10, v2, v4 offset1:30
	v_pack_b32_f16 v2, v56, v3
	v_lshrrev_b32_e32 v3, 16, v85
	v_mul_f16_e64 v4, v85, v188
	v_mul_f16_e64 v10, v87, v190
	ds_store_b32 v14, v2 offset:240
	v_mad_u16 v2, 0x5a, v105, v107
	v_fmac_f16_e32 v4, v3, v116
	v_mul_f16_e64 v3, v3, v188
	v_fmac_f16_e32 v10, v8, v117
	v_mul_f16_e64 v8, v8, v190
	v_and_b32_e32 v2, 0xffff, v2
	v_add_f16_e32 v12, v11, v4
	v_fma_f16 v3, v85, v116, -v3
	v_add_f16_e32 v13, v4, v10
	v_sub_f16_e32 v4, v4, v10
	v_fma_f16 v8, v87, v117, -v8
	v_add_f16_e32 v10, v12, v10
	v_add_f16_e32 v12, v82, v3
	v_fmac_f16_e32 v11, -0.5, v13
	v_lshlrev_b32_e32 v2, 2, v2
	v_add_f16_e32 v13, v3, v8
	v_sub_f16_e32 v3, v3, v8
	v_add_f16_e32 v12, v12, v8
	v_lshlrev_b32_e32 v85, 3, v174
	v_mov_b32_e32 v17, v2
	s_delay_alu instid0(VALU_DEP_3) | instskip(SKIP_4) | instid1(VALU_DEP_4)
	v_pack_b32_f16 v8, v12, v10
	v_fma_f16 v10, -0.5, v13, v82
	v_fmamk_f16 v13, v3, 0xbaee, v11
	v_fmac_f16_e32 v11, 0x3aee, v3
	v_lshrrev_b32_e32 v3, 16, v83
	v_fmamk_f16 v12, v4, 0x3aee, v10
	v_fmac_f16_e32 v10, 0xbaee, v4
	s_delay_alu instid0(VALU_DEP_2) | instskip(NEXT) | instid1(VALU_DEP_2)
	v_pack_b32_f16 v12, v12, v13
	v_pack_b32_f16 v10, v10, v11
	v_lshrrev_b32_e32 v13, 16, v88
	ds_store_2addr_b32 v2, v8, v12 offset1:30
	ds_store_b32 v17, v10 offset:240
	v_mad_u16 v10, 0x5a, v106, v108
	v_lshrrev_b32_e32 v2, 16, v86
	v_mul_f16_e64 v12, v86, v208
	v_fmac_f16_e32 v15, v13, v119
	s_delay_alu instid0(VALU_DEP_4) | instskip(NEXT) | instid1(VALU_DEP_4)
	v_and_b32_e32 v10, 0xffff, v10
	v_mul_f16_e64 v8, v2, v208
	s_delay_alu instid0(VALU_DEP_4) | instskip(NEXT) | instid1(VALU_DEP_3)
	v_fmac_f16_e32 v12, v2, v118
	v_lshlrev_b32_e32 v10, 2, v10
	scratch_store_b32 off, v14, off offset:320 ; 4-byte Folded Spill
	v_mul_f16_e64 v14, v13, v214
	v_fma_f16 v8, v86, v118, -v8
	v_add_f16_e32 v13, v12, v15
	s_clause 0x1
	scratch_store_b32 off, v10, off offset:324
	scratch_store_b32 off, v17, off offset:328
	v_fma_f16 v14, v88, v119, -v14
	v_add_f16_e32 v4, v83, v8
	s_delay_alu instid0(VALU_DEP_2) | instskip(NEXT) | instid1(VALU_DEP_2)
	v_add_f16_e32 v2, v8, v14
	v_add_f16_e32 v4, v4, v14
	v_sub_f16_e32 v8, v8, v14
	s_delay_alu instid0(VALU_DEP_3) | instskip(SKIP_3) | instid1(VALU_DEP_3)
	v_fmac_f16_e32 v83, -0.5, v2
	v_add_f16_e32 v2, v3, v12
	v_sub_f16_e32 v12, v12, v15
	v_fmac_f16_e32 v3, -0.5, v13
	v_add_f16_e32 v2, v2, v15
	s_delay_alu instid0(VALU_DEP_2) | instskip(SKIP_1) | instid1(VALU_DEP_3)
	v_fmamk_f16 v11, v8, 0xbaee, v3
	v_fmac_f16_e32 v3, 0x3aee, v8
	v_pack_b32_f16 v2, v4, v2
	v_fmamk_f16 v4, v12, 0x3aee, v83
	v_fmac_f16_e32 v83, 0xbaee, v12
	s_delay_alu instid0(VALU_DEP_2) | instskip(NEXT) | instid1(VALU_DEP_2)
	v_pack_b32_f16 v4, v4, v11
	v_pack_b32_f16 v8, v83, v3
	ds_store_2addr_b32 v10, v2, v4 offset1:30
	v_add_co_u32 v2, s2, v174, -9
	ds_store_b32 v10, v8 offset:240
	v_mul_lo_u16 v8, 0xb7, v9
	s_wait_alu 0xf1ff
	v_add_co_ci_u32_e64 v3, null, 0, -1, s2
	v_cndmask_b32_e32 v2, v2, v1, vcc_lo
	global_wb scope:SCOPE_SE
	s_wait_storecnt_dscnt 0x0
	v_lshrrev_b16 v8, 14, v8
	v_cndmask_b32_e32 v3, v3, v16, vcc_lo
	s_barrier_signal -1
	s_barrier_wait -1
	global_inv scope:SCOPE_SE
	v_mul_lo_u16 v9, 0x5a, v8
	v_lshlrev_b64_e32 v[3:4], 3, v[2:3]
	v_lshlrev_b32_e32 v1, 3, v1
	s_delay_alu instid0(VALU_DEP_3) | instskip(NEXT) | instid1(VALU_DEP_3)
	v_sub_nc_u16 v9, v48, v9
	v_add_co_u32 v3, vcc_lo, s6, v3
	s_wait_alu 0xfffd
	s_delay_alu instid0(VALU_DEP_4) | instskip(NEXT) | instid1(VALU_DEP_3)
	v_add_co_ci_u32_e32 v4, vcc_lo, s7, v4, vcc_lo
	v_and_b32_e32 v9, 0xff, v9
	v_cmp_lt_u16_e32 vcc_lo, 8, v84
	global_load_b64 v[132:133], v[3:4], off offset:320
	v_lshlrev_b32_e32 v3, 3, v9
	s_clause 0x1
	global_load_b64 v[136:137], v3, s[6:7] offset:320
	global_load_b64 v[124:125], v85, s[6:7] offset:320
	ds_load_2addr_b32 v[46:47], v145 offset0:42 offset1:123
	ds_load_2addr_b32 v[53:54], v166 offset0:84 offset1:165
	ds_load_2addr_b32 v[55:56], v171 offset1:81
	s_wait_dscnt 0x2
	v_lshrrev_b32_e32 v3, 16, v46
	s_wait_dscnt 0x0
	v_lshrrev_b32_e32 v12, 16, v55
	s_wait_loadcnt 0x0
	v_lshrrev_b32_e32 v10, 16, v124
	v_lshrrev_b32_e32 v16, 16, v125
	s_delay_alu instid0(VALU_DEP_2) | instskip(SKIP_2) | instid1(VALU_DEP_4)
	v_mul_f16_e32 v4, v46, v10
	v_mov_b32_e32 v17, v10
	v_lshrrev_b32_e32 v10, 16, v53
	v_mul_f16_e32 v11, v53, v16
	s_delay_alu instid0(VALU_DEP_4) | instskip(NEXT) | instid1(VALU_DEP_4)
	v_fmac_f16_e32 v4, v3, v124
	v_mul_f16_e32 v3, v3, v17
	s_delay_alu instid0(VALU_DEP_3) | instskip(SKIP_1) | instid1(VALU_DEP_4)
	v_fmac_f16_e32 v11, v10, v125
	v_mul_f16_e32 v10, v10, v16
	v_add_f16_e32 v13, v12, v4
	s_delay_alu instid0(VALU_DEP_4) | instskip(NEXT) | instid1(VALU_DEP_4)
	v_fma_f16 v3, v46, v124, -v3
	v_add_f16_e32 v14, v4, v11
	s_delay_alu instid0(VALU_DEP_4)
	v_fma_f16 v10, v53, v125, -v10
	v_sub_f16_e32 v15, v4, v11
	v_add_f16_e32 v4, v13, v11
	v_add_f16_e32 v11, v55, v3
	v_fmac_f16_e32 v12, -0.5, v14
	v_add_f16_e32 v13, v3, v10
	v_sub_f16_e32 v14, v3, v10
	s_delay_alu instid0(VALU_DEP_4) | instskip(NEXT) | instid1(VALU_DEP_3)
	v_add_f16_e32 v11, v11, v10
	v_fma_f16 v13, -0.5, v13, v55
	s_delay_alu instid0(VALU_DEP_2) | instskip(NEXT) | instid1(VALU_DEP_4)
	v_pack_b32_f16 v16, v11, v4
	v_fmamk_f16 v4, v14, 0xbaee, v12
	s_delay_alu instid0(VALU_DEP_3) | instskip(SKIP_3) | instid1(VALU_DEP_4)
	v_fmamk_f16 v3, v15, 0x3aee, v13
	v_mul_u32_u24_e32 v11, 0x2d83, v51
	v_fmac_f16_e32 v12, 0x3aee, v14
	v_fmac_f16_e32 v13, 0xbaee, v15
	v_pack_b32_f16 v17, v3, v4
	v_mul_u32_u24_e32 v3, 0x2d83, v7
	v_lshrrev_b32_e32 v43, 20, v11
	v_mul_u32_u24_e32 v11, 0x2d83, v52
	s_delay_alu instid0(VALU_DEP_3) | instskip(NEXT) | instid1(VALU_DEP_3)
	v_lshrrev_b32_e32 v7, 20, v3
	v_mul_lo_u16 v46, 0x5a, v43
	s_delay_alu instid0(VALU_DEP_3) | instskip(NEXT) | instid1(VALU_DEP_3)
	v_lshrrev_b32_e32 v11, 20, v11
	v_mul_lo_u16 v3, 0x5a, v7
	s_delay_alu instid0(VALU_DEP_3) | instskip(NEXT) | instid1(VALU_DEP_3)
	v_sub_nc_u16 v46, v99, v46
	v_mul_lo_u16 v53, 0x5a, v11
	s_delay_alu instid0(VALU_DEP_3) | instskip(NEXT) | instid1(VALU_DEP_3)
	v_sub_nc_u16 v18, v0, v3
	v_lshlrev_b16 v55, 3, v46
	s_delay_alu instid0(VALU_DEP_3) | instskip(NEXT) | instid1(VALU_DEP_3)
	v_sub_nc_u16 v53, v98, v53
	v_lshlrev_b16 v3, 3, v18
	s_delay_alu instid0(VALU_DEP_3) | instskip(NEXT) | instid1(VALU_DEP_3)
	v_and_b32_e32 v55, 0xffff, v55
	v_lshlrev_b16 v57, 3, v53
	s_delay_alu instid0(VALU_DEP_3) | instskip(NEXT) | instid1(VALU_DEP_2)
	v_and_b32_e32 v3, 0xffff, v3
	v_and_b32_e32 v57, 0xffff, v57
	s_delay_alu instid0(VALU_DEP_2) | instskip(SKIP_4) | instid1(VALU_DEP_1)
	v_add_co_u32 v3, s2, s6, v3
	s_wait_alu 0xf1ff
	v_add_co_ci_u32_e64 v4, null, s7, 0, s2
	global_load_b64 v[128:129], v[3:4], off offset:320
	v_mul_u32_u24_e32 v3, 0x2d83, v5
	v_lshrrev_b32_e32 v19, 20, v3
	s_delay_alu instid0(VALU_DEP_1) | instskip(NEXT) | instid1(VALU_DEP_1)
	v_mul_lo_u16 v3, 0x5a, v19
	v_sub_nc_u16 v20, v93, v3
	v_mul_u32_u24_e32 v3, 0x2d83, v6
	s_delay_alu instid0(VALU_DEP_2) | instskip(NEXT) | instid1(VALU_DEP_2)
	v_lshlrev_b16 v4, 3, v20
	v_lshrrev_b32_e32 v21, 20, v3
	s_delay_alu instid0(VALU_DEP_2) | instskip(NEXT) | instid1(VALU_DEP_2)
	v_and_b32_e32 v4, 0xffff, v4
	v_mul_lo_u16 v5, 0x5a, v21
	s_delay_alu instid0(VALU_DEP_2) | instskip(SKIP_2) | instid1(VALU_DEP_3)
	v_add_co_u32 v3, s2, s6, v4
	s_wait_alu 0xf1ff
	v_add_co_ci_u32_e64 v4, null, s7, 0, s2
	v_sub_nc_u16 v22, v92, v5
	global_load_b64 v[130:131], v[3:4], off offset:320
	v_mul_u32_u24_e32 v4, 0x2d83, v49
	v_lshlrev_b16 v3, 3, v22
	s_delay_alu instid0(VALU_DEP_2) | instskip(NEXT) | instid1(VALU_DEP_2)
	v_lshrrev_b32_e32 v24, 20, v4
	v_and_b32_e32 v3, 0xffff, v3
	s_delay_alu instid0(VALU_DEP_2) | instskip(NEXT) | instid1(VALU_DEP_2)
	v_mul_lo_u16 v5, 0x5a, v24
	v_add_co_u32 v3, s2, s6, v3
	s_wait_alu 0xf1ff
	v_add_co_ci_u32_e64 v4, null, s7, 0, s2
	s_delay_alu instid0(VALU_DEP_3) | instskip(SKIP_1) | instid1(VALU_DEP_1)
	v_sub_nc_u16 v25, v91, v5
	v_mul_u32_u24_e32 v5, 0x2d83, v50
	v_lshrrev_b32_e32 v26, 20, v5
	s_delay_alu instid0(VALU_DEP_3) | instskip(NEXT) | instid1(VALU_DEP_2)
	v_lshlrev_b16 v5, 3, v25
	v_mul_lo_u16 v6, 0x5a, v26
	s_delay_alu instid0(VALU_DEP_2) | instskip(NEXT) | instid1(VALU_DEP_2)
	v_and_b32_e32 v5, 0xffff, v5
	v_sub_nc_u16 v27, v90, v6
	s_delay_alu instid0(VALU_DEP_2) | instskip(SKIP_2) | instid1(VALU_DEP_3)
	v_add_co_u32 v5, s2, s6, v5
	s_wait_alu 0xf1ff
	v_add_co_ci_u32_e64 v6, null, s7, 0, s2
	v_lshlrev_b16 v10, 3, v27
	s_delay_alu instid0(VALU_DEP_1) | instskip(NEXT) | instid1(VALU_DEP_1)
	v_and_b32_e32 v10, 0xffff, v10
	v_add_co_u32 v10, s2, s6, v10
	s_wait_alu 0xf1ff
	v_add_co_ci_u32_e64 v11, null, s7, 0, s2
	v_add_co_u32 v68, s2, s6, v55
	s_wait_alu 0xf1ff
	v_add_co_ci_u32_e64 v69, null, s7, 0, s2
	v_add_co_u32 v76, s2, s6, v57
	s_wait_alu 0xf1ff
	v_add_co_ci_u32_e64 v77, null, s7, 0, s2
	s_clause 0x4
	global_load_b64 v[122:123], v[3:4], off offset:320
	global_load_b64 v[126:127], v[5:6], off offset:320
	;; [unrolled: 1-line block ×5, first 2 shown]
	s_wait_alu 0xfffd
	v_cndmask_b32_e64 v3, 0, 0x10e, vcc_lo
	ds_load_2addr_b32 v[68:69], v171 offset0:162 offset1:243
	ds_load_2addr_b32 v[76:77], v177 offset0:76 offset1:157
	;; [unrolled: 1-line block ×3, first 2 shown]
	v_mov_b32_e32 v55, v109
	ds_load_2addr_b32 v[86:87], v150 offset0:68 offset1:149
	ds_load_2addr_b32 v[88:89], v172 offset0:110 offset1:191
	;; [unrolled: 1-line block ×9, first 2 shown]
	global_wb scope:SCOPE_SE
	s_wait_loadcnt_dscnt 0x0
	s_barrier_signal -1
	s_barrier_wait -1
	global_inv scope:SCOPE_SE
	ds_store_2addr_b32 v171, v16, v17 offset1:90
	v_add_lshl_u32 v16, v2, v3, 2
	v_lshrrev_b32_e32 v2, 16, v47
	v_lshrrev_b32_e32 v4, 16, v132
	;; [unrolled: 1-line block ×4, first 2 shown]
	scratch_store_b32 off, v16, off offset:252 ; 4-byte Folded Spill
	v_cmp_gt_u16_e32 vcc_lo, 27, v84
	v_mul_f16_e32 v3, v2, v4
	v_mul_f16_e32 v4, v47, v4
	;; [unrolled: 1-line block ×4, first 2 shown]
	s_delay_alu instid0(VALU_DEP_4) | instskip(NEXT) | instid1(VALU_DEP_4)
	v_fma_f16 v3, v47, v132, -v3
	v_fmac_f16_e64 v4, v2, v132
	s_delay_alu instid0(VALU_DEP_4) | instskip(NEXT) | instid1(VALU_DEP_4)
	v_fma_f16 v6, v54, v133, -v6
	v_fmac_f16_e64 v10, v5, v133
	v_lshrrev_b32_e32 v5, 16, v56
	v_add_f16_e32 v11, v56, v3
	s_delay_alu instid0(VALU_DEP_4) | instskip(NEXT) | instid1(VALU_DEP_4)
	v_add_f16_e32 v2, v3, v6
	v_add_f16_e32 v14, v4, v10
	v_sub_f16_e32 v3, v3, v6
	s_delay_alu instid0(VALU_DEP_3) | instskip(SKIP_3) | instid1(VALU_DEP_3)
	v_fmac_f16_e32 v56, -0.5, v2
	v_add_f16_e32 v2, v5, v4
	v_sub_f16_e32 v4, v4, v10
	v_fmac_f16_e32 v5, -0.5, v14
	v_add_f16_e32 v2, v2, v10
	v_add_f16_e32 v10, v11, v6
	s_delay_alu instid0(VALU_DEP_3)
	v_fmamk_f16 v11, v3, 0xbaee, v5
	v_pack_b32_f16 v6, v13, v12
	v_fmac_f16_e32 v5, 0x3aee, v3
	v_lshrrev_b32_e32 v3, 16, v76
	v_pack_b32_f16 v2, v10, v2
	v_fmamk_f16 v10, v4, 0x3aee, v56
	v_fmac_f16_e32 v56, 0xbaee, v4
	ds_store_b32 v171, v6 offset:720
	v_lshrrev_b32_e32 v13, 16, v137
	v_pack_b32_f16 v10, v10, v11
	s_delay_alu instid0(VALU_DEP_2) | instskip(SKIP_4) | instid1(VALU_DEP_2)
	v_mul_f16_e32 v6, v82, v13
	ds_store_2addr_b32 v16, v2, v10 offset1:90
	v_pack_b32_f16 v2, v56, v5
	v_lshrrev_b32_e32 v5, 16, v136
	v_lshrrev_b32_e32 v10, 16, v68
	v_mul_f16_e32 v4, v76, v5
	v_mov_b32_e32 v14, v5
	v_lshrrev_b32_e32 v5, 16, v82
	s_delay_alu instid0(VALU_DEP_3) | instskip(NEXT) | instid1(VALU_DEP_3)
	v_fmac_f16_e64 v4, v3, v136
	v_mul_f16_e32 v3, v3, v14
	s_delay_alu instid0(VALU_DEP_3) | instskip(SKIP_1) | instid1(VALU_DEP_4)
	v_fmac_f16_e64 v6, v5, v137
	v_mul_f16_e32 v5, v5, v13
	v_add_f16_e32 v11, v10, v4
	s_delay_alu instid0(VALU_DEP_4) | instskip(NEXT) | instid1(VALU_DEP_4)
	v_fma_f16 v3, v76, v136, -v3
	v_add_f16_e32 v12, v4, v6
	v_sub_f16_e32 v4, v4, v6
	v_fma_f16 v5, v82, v137, -v5
	v_add_f16_e32 v6, v11, v6
	v_add_f16_e32 v11, v68, v3
	v_fmac_f16_e32 v10, -0.5, v12
	s_delay_alu instid0(VALU_DEP_4) | instskip(SKIP_1) | instid1(VALU_DEP_4)
	v_add_f16_e32 v12, v3, v5
	v_sub_f16_e32 v3, v3, v5
	v_add_f16_e32 v11, v11, v5
	v_and_b32_e32 v5, 0xffff, v8
	s_delay_alu instid0(VALU_DEP_1) | instskip(NEXT) | instid1(VALU_DEP_1)
	v_mul_u32_u24_e32 v5, 0x10e, v5
	v_add_lshl_u32 v14, v5, v9, 2
	s_delay_alu instid0(VALU_DEP_4) | instskip(SKIP_4) | instid1(VALU_DEP_4)
	v_pack_b32_f16 v5, v11, v6
	v_fma_f16 v6, -0.5, v12, v68
	v_fmamk_f16 v9, v3, 0xbaee, v10
	v_fmac_f16_e32 v10, 0x3aee, v3
	v_lshrrev_b32_e32 v3, 16, v69
	v_fmamk_f16 v8, v4, 0x3aee, v6
	v_fmac_f16_e32 v6, 0xbaee, v4
	s_delay_alu instid0(VALU_DEP_2)
	v_pack_b32_f16 v8, v8, v9
	ds_store_b32 v16, v2 offset:720
	ds_store_2addr_b32 v14, v5, v8 offset1:90
	v_lshrrev_b32_e32 v2, 16, v77
	v_lshrrev_b32_e32 v9, 16, v83
	v_pack_b32_f16 v6, v6, v10
	v_mul_u32_u24_e32 v16, 0x795d, v52
	ds_store_b32 v14, v6 offset:720
	v_mad_u16 v6, 0x10e, v7, v18
	v_lshrrev_b32_e32 v16, 23, v16
	s_delay_alu instid0(VALU_DEP_2) | instskip(NEXT) | instid1(VALU_DEP_1)
	v_and_b32_e32 v6, 0xffff, v6
	v_lshlrev_b32_e32 v6, 2, v6
	s_delay_alu instid0(VALU_DEP_1) | instskip(SKIP_3) | instid1(VALU_DEP_2)
	v_mov_b32_e32 v10, v6
	scratch_store_b32 off, v14, off offset:256 ; 4-byte Folded Spill
	v_lshrrev_b32_e32 v8, 16, v128
	v_lshrrev_b32_e32 v12, 16, v129
	v_mul_f16_e32 v5, v2, v8
	s_delay_alu instid0(VALU_DEP_2) | instskip(SKIP_2) | instid1(VALU_DEP_4)
	v_mul_f16_e32 v11, v9, v12
	v_mul_f16_e32 v8, v77, v8
	v_mul_f16_e32 v12, v83, v12
	v_fma_f16 v5, v77, v128, -v5
	s_delay_alu instid0(VALU_DEP_4) | instskip(NEXT) | instid1(VALU_DEP_4)
	v_fma_f16 v11, v83, v129, -v11
	v_fmac_f16_e64 v8, v2, v128
	s_delay_alu instid0(VALU_DEP_4) | instskip(NEXT) | instid1(VALU_DEP_4)
	v_fmac_f16_e64 v12, v9, v129
	v_add_f16_e32 v4, v69, v5
	s_delay_alu instid0(VALU_DEP_4) | instskip(SKIP_1) | instid1(VALU_DEP_4)
	v_add_f16_e32 v2, v5, v11
	v_sub_f16_e32 v5, v5, v11
	v_add_f16_e32 v9, v8, v12
	s_delay_alu instid0(VALU_DEP_4) | instskip(NEXT) | instid1(VALU_DEP_4)
	v_add_f16_e32 v4, v4, v11
	v_fmac_f16_e32 v69, -0.5, v2
	v_add_f16_e32 v2, v3, v8
	v_sub_f16_e32 v8, v8, v12
	v_fmac_f16_e32 v3, -0.5, v9
	s_delay_alu instid0(VALU_DEP_3) | instskip(NEXT) | instid1(VALU_DEP_2)
	v_add_f16_e32 v2, v2, v12
	v_fmamk_f16 v7, v5, 0xbaee, v3
	v_fmac_f16_e32 v3, 0x3aee, v5
	s_delay_alu instid0(VALU_DEP_3) | instskip(SKIP_2) | instid1(VALU_DEP_2)
	v_pack_b32_f16 v2, v4, v2
	v_fmamk_f16 v4, v8, 0x3aee, v69
	v_fmac_f16_e32 v69, 0xbaee, v8
	v_pack_b32_f16 v4, v4, v7
	v_lshrrev_b32_e32 v5, 16, v130
	v_lshrrev_b32_e32 v11, 16, v131
	;; [unrolled: 1-line block ×3, first 2 shown]
	ds_store_2addr_b32 v6, v2, v4 offset1:90
	v_pack_b32_f16 v2, v69, v3
	v_lshrrev_b32_e32 v3, 16, v88
	v_mul_f16_e32 v4, v88, v5
	v_mov_b32_e32 v12, v5
	v_lshrrev_b32_e32 v5, 16, v94
	v_mul_f16_e32 v6, v94, v11
	ds_store_b32 v10, v2 offset:720
	v_fmac_f16_e64 v4, v3, v130
	v_mul_f16_e32 v3, v3, v12
	v_mad_u16 v2, 0x10e, v19, v20
	v_fmac_f16_e64 v6, v5, v131
	v_mul_f16_e32 v5, v5, v11
	v_add_f16_e32 v8, v7, v4
	v_fma_f16 v3, v88, v130, -v3
	v_and_b32_e32 v2, 0xffff, v2
	v_add_f16_e32 v9, v4, v6
	v_sub_f16_e32 v4, v4, v6
	v_add_f16_e32 v6, v8, v6
	v_fma_f16 v5, v94, v131, -v5
	v_add_f16_e32 v8, v86, v3
	v_fmac_f16_e32 v7, -0.5, v9
	v_lshlrev_b32_e32 v2, 2, v2
	s_delay_alu instid0(VALU_DEP_4) | instskip(NEXT) | instid1(VALU_DEP_4)
	v_add_f16_e32 v9, v3, v5
	v_add_f16_e32 v8, v8, v5
	v_sub_f16_e32 v3, v3, v5
	s_delay_alu instid0(VALU_DEP_4)
	v_mov_b32_e32 v12, v2
	scratch_store_b32 off, v10, off offset:260 ; 4-byte Folded Spill
	v_pack_b32_f16 v5, v8, v6
	v_fma_f16 v6, -0.5, v9, v86
	v_fmamk_f16 v9, v3, 0xbaee, v7
	v_fmac_f16_e32 v7, 0x3aee, v3
	v_lshrrev_b32_e32 v3, 16, v87
	s_delay_alu instid0(VALU_DEP_4) | instskip(SKIP_1) | instid1(VALU_DEP_2)
	v_fmamk_f16 v8, v4, 0x3aee, v6
	v_fmac_f16_e32 v6, 0xbaee, v4
	v_pack_b32_f16 v8, v8, v9
	v_lshrrev_b32_e32 v9, 16, v95
	s_delay_alu instid0(VALU_DEP_3)
	v_pack_b32_f16 v6, v6, v7
	ds_store_2addr_b32 v2, v5, v8 offset1:90
	v_lshrrev_b32_e32 v2, 16, v89
	ds_store_b32 v12, v6 offset:720
	v_mad_u16 v6, 0x10e, v21, v22
	v_lshrrev_b32_e32 v8, 16, v122
	v_lshrrev_b32_e32 v11, 16, v123
	s_delay_alu instid0(VALU_DEP_3) | instskip(NEXT) | instid1(VALU_DEP_3)
	v_and_b32_e32 v6, 0xffff, v6
	v_mul_f16_e32 v5, v2, v8
	s_delay_alu instid0(VALU_DEP_3)
	v_mul_f16_e32 v10, v9, v11
	v_mul_f16_e32 v8, v89, v8
	;; [unrolled: 1-line block ×3, first 2 shown]
	v_lshlrev_b32_e32 v6, 2, v6
	v_fma_f16 v5, v89, v122, -v5
	v_fma_f16 v10, v95, v123, -v10
	v_fmac_f16_e32 v8, v2, v122
	v_fmac_f16_e32 v11, v9, v123
	s_delay_alu instid0(VALU_DEP_4) | instskip(NEXT) | instid1(VALU_DEP_4)
	v_add_f16_e32 v4, v87, v5
	v_add_f16_e32 v2, v5, v10
	v_sub_f16_e32 v5, v5, v10
	s_delay_alu instid0(VALU_DEP_4) | instskip(NEXT) | instid1(VALU_DEP_4)
	v_add_f16_e32 v9, v8, v11
	v_add_f16_e32 v4, v4, v10
	s_delay_alu instid0(VALU_DEP_4)
	v_fmac_f16_e32 v87, -0.5, v2
	v_add_f16_e32 v2, v3, v8
	v_sub_f16_e32 v8, v8, v11
	v_fmac_f16_e32 v3, -0.5, v9
	v_mov_b32_e32 v10, v6
	scratch_store_b32 off, v12, off offset:264 ; 4-byte Folded Spill
	v_add_f16_e32 v2, v2, v11
	v_lshrrev_b32_e32 v11, 16, v127
	v_fmamk_f16 v7, v5, 0xbaee, v3
	v_fmac_f16_e32 v3, 0x3aee, v5
	v_lshrrev_b32_e32 v5, 16, v126
	v_pack_b32_f16 v2, v4, v2
	v_fmamk_f16 v4, v8, 0x3aee, v87
	v_fmac_f16_e32 v87, 0xbaee, v8
	s_delay_alu instid0(VALU_DEP_4) | instskip(NEXT) | instid1(VALU_DEP_3)
	v_mov_b32_e32 v12, v5
	v_pack_b32_f16 v4, v4, v7
	v_lshrrev_b32_e32 v7, 16, v96
	ds_store_2addr_b32 v6, v2, v4 offset1:90
	v_pack_b32_f16 v2, v87, v3
	v_lshrrev_b32_e32 v3, 16, v100
	v_mul_f16_e32 v4, v100, v5
	v_lshrrev_b32_e32 v5, 16, v102
	v_mul_f16_e32 v6, v102, v11
	ds_store_b32 v10, v2 offset:720
	v_mad_u16 v2, 0x10e, v24, v25
	v_fmac_f16_e32 v4, v3, v126
	v_mul_f16_e32 v3, v3, v12
	v_fmac_f16_e32 v6, v5, v127
	v_mul_f16_e32 v5, v5, v11
	v_and_b32_e32 v2, 0xffff, v2
	v_add_f16_e32 v8, v7, v4
	v_fma_f16 v3, v100, v126, -v3
	v_add_f16_e32 v9, v4, v6
	v_sub_f16_e32 v4, v4, v6
	v_fma_f16 v5, v102, v127, -v5
	v_add_f16_e32 v6, v8, v6
	v_add_f16_e32 v8, v96, v3
	v_fmac_f16_e32 v7, -0.5, v9
	v_lshlrev_b32_e32 v2, 2, v2
	v_add_f16_e32 v9, v3, v5
	v_sub_f16_e32 v3, v3, v5
	v_add_f16_e32 v8, v8, v5
	v_lshrrev_b32_e32 v11, 16, v135
	v_mov_b32_e32 v12, v2
	scratch_store_b32 off, v10, off offset:268 ; 4-byte Folded Spill
	v_pack_b32_f16 v5, v8, v6
	v_fma_f16 v6, -0.5, v9, v96
	v_fmamk_f16 v9, v3, 0xbaee, v7
	v_fmac_f16_e32 v7, 0x3aee, v3
	v_lshrrev_b32_e32 v3, 16, v97
	s_delay_alu instid0(VALU_DEP_4) | instskip(SKIP_1) | instid1(VALU_DEP_2)
	v_fmamk_f16 v8, v4, 0x3aee, v6
	v_fmac_f16_e32 v6, 0xbaee, v4
	v_pack_b32_f16 v8, v8, v9
	v_lshrrev_b32_e32 v9, 16, v103
	s_delay_alu instid0(VALU_DEP_3)
	v_pack_b32_f16 v6, v6, v7
	ds_store_2addr_b32 v2, v5, v8 offset1:90
	v_lshrrev_b32_e32 v2, 16, v101
	v_lshrrev_b32_e32 v8, 16, v134
	v_mul_f16_e32 v10, v9, v11
	v_mul_f16_e32 v11, v103, v11
	ds_store_b32 v12, v6 offset:720
	v_mad_u16 v6, 0x10e, v26, v27
	v_mul_f16_e32 v5, v2, v8
	v_mul_f16_e32 v8, v101, v8
	v_fma_f16 v10, v103, v135, -v10
	v_fmac_f16_e64 v11, v9, v135
	v_and_b32_e32 v6, 0xffff, v6
	v_fma_f16 v5, v101, v134, -v5
	v_fmac_f16_e64 v8, v2, v134
	s_delay_alu instid0(VALU_DEP_3) | instskip(NEXT) | instid1(VALU_DEP_3)
	v_lshlrev_b32_e32 v6, 2, v6
	v_add_f16_e32 v2, v5, v10
	v_add_f16_e32 v4, v97, v5
	s_delay_alu instid0(VALU_DEP_4) | instskip(SKIP_1) | instid1(VALU_DEP_4)
	v_add_f16_e32 v9, v8, v11
	v_sub_f16_e32 v5, v5, v10
	v_fmac_f16_e32 v97, -0.5, v2
	v_add_f16_e32 v2, v3, v8
	v_sub_f16_e32 v8, v8, v11
	v_fmac_f16_e32 v3, -0.5, v9
	v_add_f16_e32 v4, v4, v10
	v_mov_b32_e32 v10, v6
	v_add_f16_e32 v2, v2, v11
	scratch_store_b32 off, v12, off offset:272 ; 4-byte Folded Spill
	v_fmamk_f16 v7, v5, 0xbaee, v3
	v_fmac_f16_e32 v3, 0x3aee, v5
	v_lshrrev_b32_e32 v5, 16, v138
	v_pack_b32_f16 v2, v4, v2
	v_fmamk_f16 v4, v8, 0x3aee, v97
	v_fmac_f16_e32 v97, 0xbaee, v8
	v_lshrrev_b32_e32 v11, 16, v139
	v_mov_b32_e32 v12, v5
	s_delay_alu instid0(VALU_DEP_4)
	v_pack_b32_f16 v4, v4, v7
	v_lshrrev_b32_e32 v7, 16, v104
	ds_store_2addr_b32 v6, v2, v4 offset1:90
	v_pack_b32_f16 v2, v97, v3
	v_lshrrev_b32_e32 v3, 16, v106
	v_mul_f16_e32 v4, v106, v5
	v_lshrrev_b32_e32 v5, 16, v108
	v_mul_f16_e32 v6, v108, v11
	ds_store_b32 v10, v2 offset:720
	v_mad_u16 v2, 0x10e, v43, v46
	v_fmac_f16_e64 v4, v3, v138
	v_mul_f16_e32 v3, v3, v12
	v_fmac_f16_e64 v6, v5, v139
	v_mul_f16_e32 v5, v5, v11
	v_and_b32_e32 v2, 0xffff, v2
	v_add_f16_e32 v8, v7, v4
	v_fma_f16 v3, v106, v138, -v3
	v_add_f16_e32 v9, v4, v6
	v_sub_f16_e32 v4, v4, v6
	v_fma_f16 v5, v108, v139, -v5
	v_add_f16_e32 v6, v8, v6
	v_add_f16_e32 v8, v104, v3
	v_fmac_f16_e32 v7, -0.5, v9
	v_lshlrev_b32_e32 v2, 2, v2
	v_add_f16_e32 v9, v3, v5
	v_sub_f16_e32 v3, v3, v5
	v_add_f16_e32 v8, v8, v5
	v_lshrrev_b32_e32 v11, 16, v141
	v_mov_b32_e32 v12, v2
	scratch_store_b32 off, v10, off offset:276 ; 4-byte Folded Spill
	v_pack_b32_f16 v5, v8, v6
	v_fma_f16 v6, -0.5, v9, v104
	scratch_store_b32 off, v12, off offset:288 ; 4-byte Folded Spill
	v_fmamk_f16 v9, v3, 0xbaee, v7
	v_fmac_f16_e32 v7, 0x3aee, v3
	v_lshrrev_b32_e32 v3, 16, v105
	v_fmamk_f16 v8, v4, 0x3aee, v6
	v_fmac_f16_e32 v6, 0xbaee, v4
	s_delay_alu instid0(VALU_DEP_2) | instskip(SKIP_1) | instid1(VALU_DEP_3)
	v_pack_b32_f16 v8, v8, v9
	v_lshrrev_b32_e32 v9, 16, v109
	v_pack_b32_f16 v6, v6, v7
	ds_store_2addr_b32 v2, v5, v8 offset1:90
	v_lshrrev_b32_e32 v2, 16, v107
	v_lshrrev_b32_e32 v8, 16, v140
	v_mul_f16_e32 v10, v9, v11
	v_mul_f16_e32 v11, v109, v11
	ds_store_b32 v12, v6 offset:720
	v_mul_f16_e32 v5, v2, v8
	v_mul_f16_e32 v8, v107, v8
	v_fma_f16 v10, v109, v141, -v10
	v_fmac_f16_e64 v11, v9, v141
	s_delay_alu instid0(VALU_DEP_4) | instskip(NEXT) | instid1(VALU_DEP_4)
	v_fma_f16 v5, v107, v140, -v5
	v_fmac_f16_e64 v8, v2, v140
	s_delay_alu instid0(VALU_DEP_2) | instskip(SKIP_1) | instid1(VALU_DEP_3)
	v_add_f16_e32 v2, v5, v10
	v_add_f16_e32 v4, v105, v5
	;; [unrolled: 1-line block ×3, first 2 shown]
	v_sub_f16_e32 v5, v5, v10
	s_delay_alu instid0(VALU_DEP_4) | instskip(SKIP_4) | instid1(VALU_DEP_4)
	v_fmac_f16_e32 v105, -0.5, v2
	v_add_f16_e32 v2, v3, v8
	v_sub_f16_e32 v8, v8, v11
	v_fmac_f16_e32 v3, -0.5, v9
	v_add_f16_e32 v4, v4, v10
	v_add_f16_e32 v2, v2, v11
	s_delay_alu instid0(VALU_DEP_3) | instskip(SKIP_1) | instid1(VALU_DEP_3)
	v_fmamk_f16 v6, v5, 0xbaee, v3
	v_fmac_f16_e32 v3, 0x3aee, v5
	v_pack_b32_f16 v2, v4, v2
	v_fmamk_f16 v4, v8, 0x3aee, v105
	v_fmac_f16_e32 v105, 0xbaee, v8
	s_delay_alu instid0(VALU_DEP_2) | instskip(SKIP_1) | instid1(VALU_DEP_1)
	v_pack_b32_f16 v4, v4, v6
	v_and_b32_e32 v6, 0xffff, v53
	v_lshlrev_b32_e32 v6, 2, v6
	s_delay_alu instid0(VALU_DEP_1)
	v_add_nc_u32_e32 v7, 0x2000, v6
	s_clause 0x1
	scratch_store_b32 off, v7, off offset:280
	scratch_store_b32 off, v6, off offset:284
	ds_store_2addr_b32 v7, v2, v4 offset0:112 offset1:202
	v_pack_b32_f16 v4, v105, v3
	v_add_co_u32 v2, s2, 0xffffffe5, v174
	s_wait_alu 0xf1ff
	v_add_co_ci_u32_e64 v3, null, 0, -1, s2
	ds_store_b32 v6, v4 offset:9360
	global_wb scope:SCOPE_SE
	s_wait_storecnt_dscnt 0x0
	s_barrier_signal -1
	s_barrier_wait -1
	global_inv scope:SCOPE_SE
	s_clause 0x3
	global_load_b64 v[142:143], v85, s[6:7] offset:1040
	global_load_b64 v[237:238], v85, s[6:7] offset:1472
	;; [unrolled: 1-line block ×4, first 2 shown]
	ds_load_2addr_b32 v[53:54], v145 offset0:42 offset1:123
	s_wait_alu 0xfffd
	v_dual_cndmask_b32 v83, v3, v42 :: v_dual_cndmask_b32 v82, v2, v0
	ds_load_2addr_b32 v[86:87], v171 offset1:81
	v_lshlrev_b32_e32 v0, 3, v0
	v_lshlrev_b64_e32 v[2:3], 3, v[82:83]
	v_lshlrev_b32_e32 v83, 3, v48
	s_delay_alu instid0(VALU_DEP_2) | instskip(SKIP_1) | instid1(VALU_DEP_3)
	v_add_co_u32 v68, vcc_lo, s6, v2
	s_wait_alu 0xfffd
	v_add_co_ci_u32_e32 v69, vcc_lo, s7, v3, vcc_lo
	v_cmp_lt_u16_e32 vcc_lo, 26, v84
	s_wait_dscnt 0x1
	v_lshrrev_b32_e32 v2, 16, v53
	s_wait_dscnt 0x0
	v_lshrrev_b32_e32 v12, 16, v86
	s_wait_loadcnt 0x3
	v_lshrrev_b32_e32 v4, 16, v142
	v_lshrrev_b32_e32 v9, 16, v143
	s_wait_loadcnt 0x2
	v_lshrrev_b32_e32 v194, 16, v237
	s_wait_loadcnt 0x0
	v_lshrrev_b32_e32 v6, 16, v56
	v_lshrrev_b32_e32 v11, 16, v57
	v_mul_f16_e32 v3, v53, v4
	v_lshrrev_b32_e32 v192, 16, v238
	v_lshrrev_b32_e32 v207, 16, v240
	;; [unrolled: 1-line block ×3, first 2 shown]
	s_delay_alu instid0(VALU_DEP_4) | instskip(SKIP_2) | instid1(VALU_DEP_3)
	v_fmac_f16_e64 v3, v2, v142
	v_mul_f16_e32 v2, v2, v4
	v_lshrrev_b32_e32 v4, 16, v54
	v_add_f16_e32 v14, v12, v3
	s_delay_alu instid0(VALU_DEP_3) | instskip(NEXT) | instid1(VALU_DEP_3)
	v_fma_f16 v2, v53, v142, -v2
	v_mul_f16_e32 v5, v4, v6
	v_mul_f16_e32 v6, v54, v6
	s_delay_alu instid0(VALU_DEP_2)
	v_fma_f16 v5, v54, v56, -v5
	ds_load_2addr_b32 v[53:54], v166 offset0:84 offset1:165
	v_fmac_f16_e32 v6, v4, v56
	s_wait_dscnt 0x0
	v_lshrrev_b32_e32 v7, 16, v53
	v_mul_f16_e32 v8, v53, v9
	s_delay_alu instid0(VALU_DEP_1) | instskip(SKIP_2) | instid1(VALU_DEP_3)
	v_fmac_f16_e64 v8, v7, v143
	v_mul_f16_e32 v7, v7, v9
	v_lshrrev_b32_e32 v9, 16, v54
	v_add_f16_e32 v13, v3, v8
	s_delay_alu instid0(VALU_DEP_3) | instskip(SKIP_1) | instid1(VALU_DEP_4)
	v_fma_f16 v7, v53, v143, -v7
	v_sub_f16_e32 v3, v3, v8
	v_mul_f16_e32 v10, v9, v11
	v_mul_f16_e32 v11, v54, v11
	v_fmac_f16_e32 v12, -0.5, v13
	v_add_f16_e32 v13, v86, v2
	v_add_f16_e32 v15, v2, v7
	v_sub_f16_e32 v2, v2, v7
	v_fma_f16 v10, v54, v57, -v10
	v_fmac_f16_e32 v11, v9, v57
	v_add_f16_e32 v13, v13, v7
	v_fma_f16 v7, -0.5, v15, v86
	s_delay_alu instid0(VALU_DEP_1)
	v_fmamk_f16 v15, v3, 0x3aee, v7
	v_fmac_f16_e32 v7, 0xbaee, v3
	v_add_f16_e32 v3, v14, v8
	v_fmamk_f16 v8, v2, 0xbaee, v12
	v_fmac_f16_e32 v12, 0x3aee, v2
	v_mul_u32_u24_e32 v14, 0x795d, v51
	s_delay_alu instid0(VALU_DEP_4) | instskip(NEXT) | instid1(VALU_DEP_4)
	v_pack_b32_f16 v2, v13, v3
	v_pack_b32_f16 v3, v15, v8
	v_lshrrev_b32_e32 v8, 16, v87
	v_pack_b32_f16 v4, v7, v12
	v_add_f16_e32 v7, v87, v5
	v_mul_u32_u24_e32 v12, 0x795d, v49
	v_lshrrev_b32_e32 v14, 23, v14
	v_add_f16_e32 v9, v8, v6
	s_delay_alu instid0(VALU_DEP_4) | instskip(NEXT) | instid1(VALU_DEP_4)
	v_add_f16_e32 v7, v7, v10
	v_lshrrev_b32_e32 v12, 23, v12
	s_delay_alu instid0(VALU_DEP_4) | instskip(NEXT) | instid1(VALU_DEP_4)
	v_mul_lo_u16 v14, 0x10e, v14
	v_add_f16_e32 v9, v9, v11
	s_delay_alu instid0(VALU_DEP_3) | instskip(NEXT) | instid1(VALU_DEP_3)
	v_mul_lo_u16 v13, 0x10e, v12
	v_sub_nc_u16 v14, v99, v14
	s_delay_alu instid0(VALU_DEP_3) | instskip(SKIP_1) | instid1(VALU_DEP_4)
	v_pack_b32_f16 v7, v7, v9
	v_mul_u32_u24_e32 v9, 0x795d, v50
	v_sub_nc_u16 v13, v91, v13
	s_delay_alu instid0(VALU_DEP_2) | instskip(NEXT) | instid1(VALU_DEP_2)
	v_lshrrev_b32_e32 v9, 23, v9
	v_lshlrev_b16 v15, 3, v13
	v_mad_u16 v12, 0x32a, v12, v13
	s_delay_alu instid0(VALU_DEP_3) | instskip(NEXT) | instid1(VALU_DEP_3)
	v_mul_lo_u16 v9, 0x10e, v9
	v_and_b32_e32 v15, 0xffff, v15
	s_delay_alu instid0(VALU_DEP_2) | instskip(NEXT) | instid1(VALU_DEP_2)
	v_sub_nc_u16 v9, v90, v9
	v_add_co_u32 v49, s2, s6, v15
	v_mul_lo_u16 v15, 0x10e, v16
	s_delay_alu instid0(VALU_DEP_3)
	v_lshlrev_b16 v17, 3, v9
	v_lshlrev_b16 v16, 3, v14
	s_wait_alu 0xf1ff
	v_add_co_ci_u32_e64 v50, null, s7, 0, s2
	v_sub_nc_u16 v15, v98, v15
	v_and_b32_e32 v17, 0xffff, v17
	v_and_b32_e32 v16, 0xffff, v16
	s_delay_alu instid0(VALU_DEP_2) | instskip(NEXT) | instid1(VALU_DEP_4)
	v_add_co_u32 v51, s2, s6, v17
	v_lshlrev_b16 v17, 3, v15
	s_wait_alu 0xf1ff
	v_add_co_ci_u32_e64 v52, null, s7, 0, s2
	v_add_co_u32 v76, s2, s6, v16
	s_delay_alu instid0(VALU_DEP_3) | instskip(SKIP_2) | instid1(VALU_DEP_2)
	v_and_b32_e32 v17, 0xffff, v17
	s_wait_alu 0xf1ff
	v_add_co_ci_u32_e64 v77, null, s7, 0, s2
	v_add_co_u32 v88, s2, s6, v17
	s_wait_alu 0xf1ff
	v_add_co_ci_u32_e64 v89, null, s7, 0, s2
	s_clause 0x5
	global_load_b64 v[180:181], v[49:50], off offset:1040
	global_load_b64 v[155:156], v[51:52], off offset:1040
	;; [unrolled: 1-line block ×5, first 2 shown]
	global_load_b64 v[76:77], v83, s[6:7] offset:1040
	ds_load_2addr_b32 v[88:89], v171 offset0:162 offset1:243
	ds_load_2addr_b32 v[94:95], v177 offset0:76 offset1:157
	;; [unrolled: 1-line block ×12, first 2 shown]
	global_wb scope:SCOPE_SE
	s_wait_loadcnt_dscnt 0x0
	s_barrier_signal -1
	s_barrier_wait -1
	global_inv scope:SCOPE_SE
	ds_store_b32 v171, v3 offset:1080
	ds_store_b32 v171, v4 offset:2160
	ds_store_2addr_b32 v171, v2, v7 offset1:81
	v_add_f16_e32 v2, v5, v10
	v_sub_f16_e32 v3, v6, v11
	s_add_nc_u64 s[2:3], s[4:5], 0x25f8
	s_delay_alu instid0(VALU_DEP_2)
	v_fmac_f16_e32 v87, -0.5, v2
	v_add_f16_e32 v2, v6, v11
	v_lshrrev_b32_e32 v7, 16, v96
	v_mul_f16_e64 v18, v102, v194
	v_lshrrev_b32_e32 v20, 16, v104
	v_fmamk_f16 v4, v3, 0x3aee, v87
	v_fmac_f16_e32 v8, -0.5, v2
	v_sub_f16_e32 v2, v5, v10
	v_fmac_f16_e32 v87, 0xbaee, v3
	v_lshrrev_b32_e32 v5, 16, v94
	v_lshrrev_b32_e32 v10, 16, v88
	v_mul_f16_e64 v21, v20, v192
	v_fmamk_f16 v3, v2, 0xbaee, v8
	v_fmac_f16_e32 v8, 0x3aee, v2
	v_mul_f16_e64 v25, v104, v192
	v_mul_f16_e64 v19, v103, v207
	v_fma_f16 v21, v104, v238, -v21
	v_pack_b32_f16 v3, v4, v3
	v_pack_b32_f16 v2, v87, v8
	v_lshrrev_b32_e32 v22, 16, v105
	v_fmac_f16_e64 v25, v20, v238
	v_mul_f16_e64 v26, v105, v203
	s_delay_alu instid0(VALU_DEP_3) | instskip(NEXT) | instid1(VALU_DEP_2)
	v_mul_f16_e64 v24, v22, v203
	v_fmac_f16_e64 v26, v22, v241
	v_lshrrev_b32_e32 v22, 16, v120
	s_delay_alu instid0(VALU_DEP_3)
	v_fma_f16 v24, v105, v241, -v24
	v_lshrrev_b32_e32 v200, 16, v180
	v_lshrrev_b32_e32 v175, 16, v155
	;; [unrolled: 1-line block ×10, first 2 shown]
	v_mul_f16_e64 v6, v94, v243
	v_mul_f16_e64 v8, v96, v244
	;; [unrolled: 1-line block ×3, first 2 shown]
	v_lshrrev_b32_e32 v204, 16, v218
	v_lshrrev_b32_e32 v184, 16, v212
	v_fmac_f16_e32 v6, v5, v76
	v_fmac_f16_e32 v8, v7, v77
	v_mul_f16_e64 v5, v5, v243
	v_mul_f16_e64 v7, v7, v244
	;; [unrolled: 1-line block ×3, first 2 shown]
	v_add_f16_e32 v11, v10, v6
	v_add_f16_e32 v16, v6, v8
	v_fma_f16 v5, v94, v76, -v5
	v_fma_f16 v7, v96, v77, -v7
	v_sub_f16_e32 v6, v6, v8
	v_add_f16_e32 v8, v11, v8
	v_fmac_f16_e32 v10, -0.5, v16
	v_add_f16_e32 v11, v88, v5
	v_add_f16_e32 v16, v5, v7
	v_sub_f16_e32 v5, v5, v7
	v_fmac_f16_e64 v27, v22, v218
	s_delay_alu instid0(VALU_DEP_4) | instskip(NEXT) | instid1(VALU_DEP_4)
	v_add_f16_e32 v11, v11, v7
	v_fma_f16 v7, -0.5, v16, v88
	v_lshrrev_b32_e32 v16, 16, v103
	s_delay_alu instid0(VALU_DEP_3) | instskip(NEXT) | instid1(VALU_DEP_3)
	v_pack_b32_f16 v4, v11, v8
	v_fmamk_f16 v8, v6, 0x3aee, v7
	v_fmamk_f16 v11, v5, 0xbaee, v10
	v_fmac_f16_e32 v7, 0xbaee, v6
	v_fmac_f16_e32 v10, 0x3aee, v5
	v_lshrrev_b32_e32 v5, 16, v97
	v_mul_f16_e64 v17, v16, v207
	v_pack_b32_f16 v8, v8, v11
	ds_store_b32 v171, v4 offset:648
	ds_store_2addr_b32 v150, v3, v8 offset0:95 offset1:176
	v_pack_b32_f16 v3, v7, v10
	v_mul_f16_e64 v6, v5, v233
	v_mul_f16_e64 v4, v95, v213
	;; [unrolled: 1-line block ×3, first 2 shown]
	v_fma_f16 v17, v103, v240, -v17
	ds_store_2addr_b32 v176, v2, v3 offset0:109 offset1:190
	s_wait_alu 0xfffd
	v_cndmask_b32_e64 v2, 0, 0x32a, vcc_lo
	v_fma_f16 v6, v97, v69, -v6
	v_fmac_f16_e32 v7, v5, v69
	v_lshrrev_b32_e32 v5, 16, v89
	v_fmac_f16_e64 v19, v16, v240
	v_add_lshl_u32 v201, v82, v2, 2
	v_lshrrev_b32_e32 v2, 16, v95
	v_mul_f16_e64 v82, v121, v184
	s_delay_alu instid0(VALU_DEP_2) | instskip(SKIP_1) | instid1(VALU_DEP_2)
	v_mul_f16_e64 v3, v2, v213
	v_fmac_f16_e32 v4, v2, v68
	v_fma_f16 v3, v95, v68, -v3
	s_delay_alu instid0(VALU_DEP_1) | instskip(SKIP_1) | instid1(VALU_DEP_2)
	v_add_f16_e32 v2, v3, v6
	v_add_f16_e32 v8, v89, v3
	v_fmac_f16_e32 v89, -0.5, v2
	v_sub_f16_e32 v2, v4, v7
	s_delay_alu instid0(VALU_DEP_1) | instskip(SKIP_3) | instid1(VALU_DEP_2)
	v_fmamk_f16 v10, v2, 0x3aee, v89
	v_fmac_f16_e32 v89, 0xbaee, v2
	v_add_f16_e32 v2, v4, v7
	v_add_f16_e32 v4, v5, v4
	v_fmac_f16_e32 v5, -0.5, v2
	v_sub_f16_e32 v2, v3, v6
	v_add_f16_e32 v6, v8, v6
	s_delay_alu instid0(VALU_DEP_4) | instskip(SKIP_1) | instid1(VALU_DEP_4)
	v_add_f16_e32 v4, v4, v7
	v_lshrrev_b32_e32 v8, 16, v101
	v_fmamk_f16 v3, v2, 0xbaee, v5
	v_fmac_f16_e32 v5, 0x3aee, v2
	s_delay_alu instid0(VALU_DEP_4) | instskip(SKIP_1) | instid1(VALU_DEP_4)
	v_pack_b32_f16 v4, v6, v4
	v_lshrrev_b32_e32 v6, 16, v100
	v_pack_b32_f16 v3, v10, v3
	s_delay_alu instid0(VALU_DEP_4) | instskip(SKIP_2) | instid1(VALU_DEP_2)
	v_pack_b32_f16 v2, v89, v5
	v_lshrrev_b32_e32 v5, 16, v102
	v_add_f16_e32 v10, v8, v19
	v_mul_f16_e64 v11, v5, v194
	v_fmac_f16_e64 v18, v5, v237
	s_delay_alu instid0(VALU_DEP_3) | instskip(NEXT) | instid1(VALU_DEP_3)
	v_add_f16_e32 v10, v10, v26
	v_fma_f16 v11, v102, v237, -v11
	s_delay_alu instid0(VALU_DEP_3) | instskip(NEXT) | instid1(VALU_DEP_2)
	v_add_f16_e32 v7, v6, v18
	v_add_f16_e32 v5, v100, v11
	s_delay_alu instid0(VALU_DEP_2) | instskip(NEXT) | instid1(VALU_DEP_2)
	v_add_f16_e32 v7, v7, v25
	v_add_f16_e32 v5, v5, v21
	s_delay_alu instid0(VALU_DEP_1) | instskip(SKIP_1) | instid1(VALU_DEP_1)
	v_pack_b32_f16 v5, v5, v7
	v_add_f16_e32 v7, v101, v17
	v_add_f16_e32 v7, v7, v24
	s_delay_alu instid0(VALU_DEP_1)
	v_pack_b32_f16 v7, v7, v10
	ds_store_b32 v201, v4
	ds_store_b32 v201, v3 offset:1080
	ds_store_b32 v201, v2 offset:2160
	ds_store_2addr_b32 v145, v5, v7 offset0:96 offset1:177
	v_add_f16_e32 v2, v18, v25
	v_add_f16_e32 v5, v17, v24
	v_sub_f16_e32 v3, v18, v25
	v_sub_f16_e32 v4, v11, v21
	;; [unrolled: 1-line block ×3, first 2 shown]
	v_fmac_f16_e32 v6, -0.5, v2
	v_add_f16_e32 v2, v11, v21
	v_fmac_f16_e32 v101, -0.5, v5
	v_add_f16_e32 v5, v19, v26
	v_lshrrev_b32_e32 v18, 16, v115
	v_fmamk_f16 v11, v4, 0xbaee, v6
	v_fma_f16 v2, -0.5, v2, v100
	v_fmac_f16_e32 v6, 0x3aee, v4
	v_fmac_f16_e32 v8, -0.5, v5
	v_sub_f16_e32 v5, v17, v24
	v_lshrrev_b32_e32 v4, 16, v109
	v_fmamk_f16 v10, v3, 0x3aee, v2
	v_fmac_f16_e32 v2, 0xbaee, v3
	v_mul_f16_e64 v21, v115, v186
	v_fmamk_f16 v16, v5, 0xbaee, v8
	v_fmac_f16_e32 v8, 0x3aee, v5
	v_pack_b32_f16 v10, v10, v11
	v_fmamk_f16 v11, v7, 0x3aee, v101
	v_fmac_f16_e32 v101, 0xbaee, v7
	v_pack_b32_f16 v2, v2, v6
	v_mul_f16_e64 v7, v109, v175
	v_mul_f16_e64 v6, v108, v200
	v_pack_b32_f16 v11, v11, v16
	v_pack_b32_f16 v5, v101, v8
	v_lshrrev_b32_e32 v8, 16, v111
	v_fmac_f16_e64 v7, v4, v155
	v_lshrrev_b32_e32 v16, 16, v114
	ds_store_2addr_b32 v172, v10, v11 offset0:110 offset1:191
	ds_store_2addr_b32 v144, v2, v5 offset0:124 offset1:205
	v_mul_f16_e64 v5, v4, v175
	v_mul_f16_e64 v10, v8, v202
	;; [unrolled: 1-line block ×3, first 2 shown]
	v_lshrrev_b32_e32 v2, 16, v108
	v_mul_f16_e64 v4, v110, v198
	v_fma_f16 v5, v109, v155, -v5
	v_fma_f16 v10, v111, v156, -v10
	v_fmac_f16_e64 v11, v8, v156
	v_mul_f16_e64 v3, v2, v200
	v_fmac_f16_e64 v6, v2, v180
	v_lshrrev_b32_e32 v2, 16, v110
	v_add_f16_e32 v8, v5, v10
	v_mul_f16_e64 v17, v16, v173
	v_mul_f16_e64 v19, v18, v186
	v_fmac_f16_e64 v20, v16, v217
	v_fmac_f16_e64 v21, v18, v211
	v_lshrrev_b32_e32 v16, 16, v107
	v_add_f16_e32 v18, v107, v5
	v_fmac_f16_e32 v107, -0.5, v8
	v_sub_f16_e32 v8, v7, v11
	v_fmac_f16_e64 v4, v2, v181
	v_mul_f16_e64 v2, v2, v198
	v_mul_f16_e64 v24, v22, v204
	v_fma_f16 v3, v108, v180, -v3
	v_fmamk_f16 v22, v8, 0x3aee, v107
	v_fmac_f16_e32 v107, 0xbaee, v8
	v_add_f16_e32 v8, v7, v11
	v_fma_f16 v2, v110, v181, -v2
	v_lshrrev_b32_e32 v25, 16, v121
	v_add_f16_e32 v7, v16, v7
	v_sub_f16_e32 v5, v5, v10
	v_fmac_f16_e32 v16, -0.5, v8
	v_add_f16_e32 v84, v106, v3
	v_mul_f16_e64 v26, v25, v184
	v_fmac_f16_e64 v82, v25, v212
	v_lshrrev_b32_e32 v25, 16, v106
	v_fmamk_f16 v8, v5, 0xbaee, v16
	v_fmac_f16_e32 v16, 0x3aee, v5
	v_add_f16_e32 v5, v3, v2
	v_add_f16_e32 v86, v6, v4
	v_fma_f16 v19, v115, v211, -v19
	v_fma_f16 v26, v121, v212, -v26
	v_add_f16_e32 v87, v25, v6
	v_fma_f16 v5, -0.5, v5, v106
	v_fmac_f16_e32 v25, -0.5, v86
	v_add_f16_e32 v84, v84, v2
	v_sub_f16_e32 v2, v3, v2
	v_sub_f16_e32 v3, v6, v4
	v_add_f16_e32 v7, v7, v11
	v_lshrrev_b32_e32 v11, 16, v113
	v_fma_f16 v17, v114, v217, -v17
	v_fma_f16 v24, v120, v218, -v24
	v_fmamk_f16 v6, v3, 0x3aee, v5
	v_fmac_f16_e32 v5, 0xbaee, v3
	v_add_f16_e32 v3, v87, v4
	v_fmamk_f16 v4, v2, 0xbaee, v25
	v_fmac_f16_e32 v25, 0x3aee, v2
	v_add_f16_e32 v2, v18, v10
	v_add_f16_e32 v10, v19, v26
	;; [unrolled: 1-line block ×3, first 2 shown]
	v_pack_b32_f16 v4, v6, v4
	v_and_b32_e32 v6, 0xffff, v12
	v_lshrrev_b32_e32 v87, 16, v112
	v_fmac_f16_e32 v113, -0.5, v10
	v_sub_f16_e32 v10, v21, v82
	v_pack_b32_f16 v3, v84, v3
	v_lshlrev_b32_e32 v215, 2, v6
	v_add_f16_e32 v89, v20, v27
	v_pack_b32_f16 v5, v5, v25
	v_fmamk_f16 v86, v10, 0x3aee, v113
	v_fmac_f16_e32 v113, 0xbaee, v10
	v_add_f16_e32 v10, v21, v82
	v_add_f16_e32 v21, v11, v21
	;; [unrolled: 1-line block ×4, first 2 shown]
	v_sub_f16_e32 v20, v20, v27
	v_fmac_f16_e32 v11, -0.5, v10
	v_sub_f16_e32 v10, v19, v26
	ds_store_b32 v215, v3
	ds_store_b32 v215, v4 offset:1080
	ds_store_b32 v215, v5 offset:2160
	v_and_b32_e32 v4, 0xffff, v9
	v_fmac_f16_e32 v87, -0.5, v89
	v_add_f16_e32 v88, v88, v24
	v_fmamk_f16 v19, v10, 0xbaee, v11
	v_fmac_f16_e32 v11, 0x3aee, v10
	v_add_f16_e32 v10, v17, v24
	v_sub_f16_e32 v17, v17, v24
	v_pack_b32_f16 v2, v2, v7
	v_lshlrev_b32_e32 v216, 2, v4
	v_and_b32_e32 v5, 0xffff, v14
	v_fma_f16 v10, -0.5, v10, v112
	v_pack_b32_f16 v3, v22, v8
	v_pack_b32_f16 v16, v107, v16
	ds_store_b32 v216, v2 offset:6480
	ds_store_b32 v216, v3 offset:7560
	;; [unrolled: 1-line block ×3, first 2 shown]
	v_fmamk_f16 v24, v20, 0x3aee, v10
	v_fmac_f16_e32 v10, 0xbaee, v20
	v_add_f16_e32 v20, v94, v27
	v_fmamk_f16 v27, v17, 0xbaee, v87
	v_fmac_f16_e32 v87, 0x3aee, v17
	v_lshlrev_b32_e32 v209, 2, v5
	v_add_f16_e32 v17, v18, v26
	v_pack_b32_f16 v2, v88, v20
	v_pack_b32_f16 v3, v24, v27
	;; [unrolled: 1-line block ×3, first 2 shown]
	v_add_f16_e32 v13, v21, v82
	ds_store_b32 v209, v2 offset:6480
	ds_store_b32 v209, v3 offset:7560
	;; [unrolled: 1-line block ×3, first 2 shown]
	v_and_b32_e32 v4, 0xffff, v15
	v_pack_b32_f16 v3, v86, v19
	v_pack_b32_f16 v2, v17, v13
	;; [unrolled: 1-line block ×3, first 2 shown]
	s_delay_alu instid0(VALU_DEP_4)
	v_lshlrev_b32_e32 v210, 2, v4
	ds_store_b32 v210, v2 offset:6480
	ds_store_b32 v210, v3 offset:7560
	;; [unrolled: 1-line block ×3, first 2 shown]
	global_wb scope:SCOPE_SE
	s_wait_dscnt 0x0
	s_barrier_signal -1
	s_barrier_wait -1
	global_inv scope:SCOPE_SE
	s_clause 0x3
	global_load_b64 v[88:89], v85, s[6:7] offset:3200
	global_load_b64 v[86:87], v1, s[6:7] offset:3200
	;; [unrolled: 1-line block ×4, first 2 shown]
	ds_load_2addr_b32 v[0:1], v145 offset0:42 offset1:123
	s_wait_dscnt 0x0
	v_lshrrev_b32_e32 v2, 16, v0
	v_lshrrev_b32_e32 v4, 16, v1
	s_wait_loadcnt 0x3
	v_lshrrev_b32_e32 v161, 16, v88
	s_wait_loadcnt 0x2
	v_lshrrev_b32_e32 v187, 16, v86
	v_lshrrev_b32_e32 v157, 16, v89
	;; [unrolled: 1-line block ×3, first 2 shown]
	s_wait_loadcnt 0x1
	v_lshrrev_b32_e32 v149, 16, v84
	v_mul_f16_e64 v3, v0, v161
	v_mul_f16_e64 v13, v1, v187
	v_lshrrev_b32_e32 v163, 16, v85
	s_wait_loadcnt 0x0
	v_lshrrev_b32_e32 v154, 16, v82
	v_lshrrev_b32_e32 v148, 16, v83
	v_fmac_f16_e32 v3, v2, v88
	v_mul_f16_e64 v2, v2, v161
	v_fmac_f16_e32 v13, v4, v86
	s_delay_alu instid0(VALU_DEP_2) | instskip(SKIP_1) | instid1(VALU_DEP_1)
	v_fma_f16 v2, v0, v88, -v2
	v_mul_f16_e64 v0, v4, v187
	v_fma_f16 v12, v1, v86, -v0
	ds_load_2addr_b32 v[0:1], v166 offset0:84 offset1:165
	s_wait_dscnt 0x0
	v_lshrrev_b32_e32 v5, 16, v0
	v_mul_f16_e64 v6, v0, v157
	v_lshrrev_b32_e32 v7, 16, v1
	v_mul_f16_e64 v15, v1, v165
	s_delay_alu instid0(VALU_DEP_3) | instskip(SKIP_1) | instid1(VALU_DEP_3)
	v_fmac_f16_e32 v6, v5, v89
	v_mul_f16_e64 v5, v5, v157
	v_fmac_f16_e32 v15, v7, v87
	s_delay_alu instid0(VALU_DEP_3) | instskip(NEXT) | instid1(VALU_DEP_3)
	v_add_f16_e32 v9, v3, v6
	v_fma_f16 v5, v0, v89, -v5
	v_mul_f16_e64 v0, v7, v165
	s_delay_alu instid0(VALU_DEP_2) | instskip(NEXT) | instid1(VALU_DEP_2)
	v_add_f16_e32 v11, v2, v5
	v_fma_f16 v14, v1, v87, -v0
	ds_load_2addr_b32 v[0:1], v171 offset1:81
	s_wait_dscnt 0x0
	v_lshrrev_b32_e32 v8, 16, v0
	v_lshrrev_b32_e32 v18, 16, v1
	s_delay_alu instid0(VALU_DEP_2)
	v_add_f16_e32 v10, v8, v3
	v_fmac_f16_e32 v8, -0.5, v9
	v_add_f16_e32 v9, v0, v2
	v_fma_f16 v0, -0.5, v11, v0
	v_sub_f16_e32 v3, v3, v6
	v_sub_f16_e32 v2, v2, v5
	s_delay_alu instid0(VALU_DEP_4) | instskip(NEXT) | instid1(VALU_DEP_3)
	v_add_f16_e32 v9, v9, v5
	v_fmamk_f16 v5, v3, 0x3aee, v0
	v_fmac_f16_e32 v0, 0xbaee, v3
	v_add_f16_e32 v3, v10, v6
	v_fmamk_f16 v6, v2, 0xbaee, v8
	v_fmac_f16_e32 v8, 0x3aee, v2
	v_add_f16_e32 v2, v1, v12
	s_delay_alu instid0(VALU_DEP_4) | instskip(SKIP_2) | instid1(VALU_DEP_4)
	v_pack_b32_f16 v16, v9, v3
	v_add_f16_e32 v3, v18, v13
	v_pack_b32_f16 v17, v5, v6
	v_add_f16_e32 v2, v2, v14
	v_pack_b32_f16 v0, v0, v8
	s_delay_alu instid0(VALU_DEP_4) | instskip(NEXT) | instid1(VALU_DEP_1)
	v_add_f16_e32 v3, v3, v15
	v_pack_b32_f16 v19, v2, v3
	ds_load_2addr_b32 v[94:95], v171 offset0:162 offset1:243
	ds_load_2addr_b32 v[96:97], v177 offset0:76 offset1:157
	;; [unrolled: 1-line block ×12, first 2 shown]
	ds_store_b32 v171, v17 offset:3240
	ds_store_b32 v171, v0 offset:6480
	ds_store_2addr_b32 v171, v16, v19 offset1:81
	v_add_f16_e32 v0, v12, v14
	s_delay_alu instid0(VALU_DEP_1)
	v_fmac_f16_e32 v1, -0.5, v0
	v_add_f16_e32 v0, v13, v15
	v_sub_f16_e32 v13, v13, v15
	s_wait_dscnt 0xc
	v_lshrrev_b32_e32 v15, 16, v100
	v_mul_f16_e64 v16, v100, v163
	v_lshrrev_b32_e32 v17, 16, v94
	v_fmac_f16_e32 v18, -0.5, v0
	v_sub_f16_e32 v0, v12, v14
	v_fmamk_f16 v12, v13, 0x3aee, v1
	v_fmac_f16_e32 v1, 0xbaee, v13
	v_mul_f16_e64 v14, v96, v149
	v_fmac_f16_e32 v16, v15, v85
	v_fmamk_f16 v13, v0, 0xbaee, v18
	v_fmac_f16_e32 v18, 0x3aee, v0
	s_delay_alu instid0(VALU_DEP_2) | instskip(NEXT) | instid1(VALU_DEP_2)
	v_pack_b32_f16 v12, v12, v13
	v_pack_b32_f16 v0, v1, v18
	v_lshrrev_b32_e32 v1, 16, v96
	v_mul_f16_e64 v13, v15, v163
	s_delay_alu instid0(VALU_DEP_2) | instskip(SKIP_1) | instid1(VALU_DEP_3)
	v_fmac_f16_e32 v14, v1, v84
	v_mul_f16_e64 v1, v1, v149
	v_fma_f16 v13, v100, v85, -v13
	s_delay_alu instid0(VALU_DEP_3) | instskip(NEXT) | instid1(VALU_DEP_3)
	v_add_f16_e32 v18, v14, v16
	v_fma_f16 v1, v96, v84, -v1
	v_add_f16_e32 v19, v17, v14
	v_sub_f16_e32 v14, v14, v16
	s_delay_alu instid0(VALU_DEP_4) | instskip(NEXT) | instid1(VALU_DEP_4)
	v_fmac_f16_e32 v17, -0.5, v18
	v_add_f16_e32 v15, v1, v13
	v_sub_f16_e32 v18, v1, v13
	v_add_f16_e32 v1, v94, v1
	s_delay_alu instid0(VALU_DEP_3) | instskip(NEXT) | instid1(VALU_DEP_3)
	v_fma_f16 v15, -0.5, v15, v94
	v_fmamk_f16 v21, v18, 0xbaee, v17
	v_fmac_f16_e32 v17, 0x3aee, v18
	s_delay_alu instid0(VALU_DEP_4)
	v_add_f16_e32 v1, v1, v13
	v_add_f16_e32 v13, v19, v16
	v_fmamk_f16 v20, v14, 0x3aee, v15
	v_fmac_f16_e32 v15, 0xbaee, v14
	v_mul_f16_e64 v14, v97, v154
	v_mul_f16_e64 v18, v101, v148
	v_lshlrev_b32_e32 v16, 3, v90
	v_pack_b32_f16 v20, v20, v21
	ds_store_2addr_b32 v145, v12, v20 offset0:123 offset1:204
	v_pack_b32_f16 v12, v15, v17
	v_lshrrev_b32_e32 v15, 16, v101
	ds_store_2addr_b32 v166, v0, v12 offset0:165 offset1:246
	v_lshrrev_b32_e32 v0, 16, v97
	v_mul_f16_e64 v17, v15, v148
	v_fmac_f16_e32 v18, v15, v83
	s_delay_alu instid0(VALU_DEP_3)
	v_mul_f16_e64 v12, v0, v154
	v_fmac_f16_e32 v14, v0, v82
	v_pack_b32_f16 v0, v1, v13
	v_lshrrev_b32_e32 v13, 16, v95
	v_fma_f16 v17, v101, v83, -v17
	v_fma_f16 v12, v97, v82, -v12
	s_delay_alu instid0(VALU_DEP_3) | instskip(NEXT) | instid1(VALU_DEP_2)
	v_add_f16_e32 v15, v13, v14
	v_add_f16_e32 v1, v95, v12
	s_delay_alu instid0(VALU_DEP_2) | instskip(NEXT) | instid1(VALU_DEP_2)
	v_add_f16_e32 v15, v15, v18
	v_add_f16_e32 v1, v1, v17
	s_delay_alu instid0(VALU_DEP_1) | instskip(SKIP_4) | instid1(VALU_DEP_2)
	v_pack_b32_f16 v1, v1, v15
	v_lshlrev_b32_e32 v15, 3, v91
	ds_store_2addr_b32 v171, v0, v1 offset0:162 offset1:243
	v_add_f16_e32 v0, v12, v17
	v_sub_f16_e32 v1, v14, v18
	v_fmac_f16_e32 v95, -0.5, v0
	v_add_f16_e32 v0, v14, v18
	v_lshlrev_b32_e32 v14, 3, v92
	s_delay_alu instid0(VALU_DEP_2)
	v_fmac_f16_e32 v13, -0.5, v0
	v_sub_f16_e32 v0, v12, v17
	v_fmamk_f16 v12, v1, 0x3aee, v95
	v_fmac_f16_e32 v95, 0xbaee, v1
	s_wait_dscnt 0xe
	v_lshrrev_b32_e32 v17, 16, v102
	v_fmamk_f16 v1, v0, 0xbaee, v13
	v_fmac_f16_e32 v13, 0x3aee, v0
	s_delay_alu instid0(VALU_DEP_2) | instskip(NEXT) | instid1(VALU_DEP_2)
	v_pack_b32_f16 v1, v12, v1
	v_pack_b32_f16 v0, v95, v13
	v_lshlrev_b32_e32 v13, 3, v93
	s_clause 0x3
	global_load_b64 v[96:97], v13, s[6:7] offset:3200
	global_load_b64 v[94:95], v14, s[6:7] offset:3200
	;; [unrolled: 1-line block ×4, first 2 shown]
	s_wait_dscnt 0xd
	v_lshrrev_b32_e32 v13, 16, v104
	s_wait_dscnt 0xc
	v_lshrrev_b32_e32 v15, 16, v106
	s_wait_loadcnt 0x3
	v_lshrrev_b32_e32 v120, 16, v96
	v_lshrrev_b32_e32 v121, 16, v97
	s_wait_loadcnt 0x2
	v_lshrrev_b32_e32 v114, 16, v94
	;; [unrolled: 3-line block ×3, first 2 shown]
	v_mul_f16_e32 v14, v104, v120
	v_mul_f16_e32 v16, v106, v121
	v_mul_f16_e32 v12, v13, v120
	v_lshrrev_b32_e32 v113, 16, v93
	s_wait_loadcnt 0x0
	v_lshrrev_b32_e32 v110, 16, v90
	v_fmac_f16_e32 v14, v13, v96
	v_mul_f16_e32 v13, v15, v121
	v_fmac_f16_e32 v16, v15, v97
	v_fma_f16 v12, v104, v96, -v12
	v_lshrrev_b32_e32 v111, 16, v91
	v_add_f16_e32 v19, v17, v14
	v_fma_f16 v13, v106, v97, -v13
	v_add_f16_e32 v18, v14, v16
	v_sub_f16_e32 v14, v14, v16
	s_delay_alu instid0(VALU_DEP_3) | instskip(NEXT) | instid1(VALU_DEP_3)
	v_add_f16_e32 v15, v12, v13
	v_fmac_f16_e32 v17, -0.5, v18
	v_sub_f16_e32 v18, v12, v13
	v_add_f16_e32 v12, v102, v12
	s_delay_alu instid0(VALU_DEP_4) | instskip(NEXT) | instid1(VALU_DEP_3)
	v_fma_f16 v15, -0.5, v15, v102
	v_fmamk_f16 v21, v18, 0xbaee, v17
	v_fmac_f16_e32 v17, 0x3aee, v18
	s_delay_alu instid0(VALU_DEP_4) | instskip(NEXT) | instid1(VALU_DEP_4)
	v_add_f16_e32 v12, v12, v13
	v_fmamk_f16 v20, v14, 0x3aee, v15
	v_fmac_f16_e32 v15, 0xbaee, v14
	v_mul_f16_e32 v14, v105, v114
	v_add_f16_e32 v13, v19, v16
	v_mul_f16_e32 v18, v107, v115
	v_pack_b32_f16 v20, v20, v21
	s_wait_dscnt 0x9
	v_mul_f16_e32 v16, v6, v113
	ds_store_2addr_b32 v172, v1, v20 offset0:29 offset1:110
	v_pack_b32_f16 v1, v15, v17
	v_lshrrev_b32_e32 v15, 16, v107
	ds_store_2addr_b32 v162, v0, v1 offset0:71 offset1:152
	v_lshrrev_b32_e32 v0, 16, v105
	v_mul_f16_e32 v17, v15, v115
	v_fmac_f16_e32 v18, v15, v95
	s_delay_alu instid0(VALU_DEP_3)
	v_mul_f16_e32 v1, v0, v114
	v_fmac_f16_e32 v14, v0, v94
	v_pack_b32_f16 v0, v12, v13
	v_lshrrev_b32_e32 v13, 16, v103
	v_fma_f16 v17, v107, v95, -v17
	v_fma_f16 v1, v105, v94, -v1
	s_delay_alu instid0(VALU_DEP_3) | instskip(NEXT) | instid1(VALU_DEP_2)
	v_add_f16_e32 v15, v13, v14
	v_add_f16_e32 v12, v103, v1
	s_delay_alu instid0(VALU_DEP_2) | instskip(NEXT) | instid1(VALU_DEP_2)
	v_add_f16_e32 v15, v15, v18
	v_add_f16_e32 v12, v12, v17
	s_delay_alu instid0(VALU_DEP_1)
	v_pack_b32_f16 v12, v12, v15
	v_lshrrev_b32_e32 v15, 16, v6
	ds_store_2addr_b32 v150, v0, v12 offset0:68 offset1:149
	v_add_f16_e32 v0, v1, v17
	v_sub_f16_e32 v12, v14, v18
	v_fmac_f16_e32 v16, v15, v93
	s_delay_alu instid0(VALU_DEP_3) | instskip(SKIP_2) | instid1(VALU_DEP_2)
	v_fmac_f16_e32 v103, -0.5, v0
	v_add_f16_e32 v0, v14, v18
	v_mul_f16_e32 v14, v108, v112
	v_fmac_f16_e32 v13, -0.5, v0
	v_sub_f16_e32 v0, v1, v17
	v_fmamk_f16 v1, v12, 0x3aee, v103
	v_fmac_f16_e32 v103, 0xbaee, v12
	v_lshrrev_b32_e32 v17, 16, v2
	s_delay_alu instid0(VALU_DEP_4) | instskip(SKIP_1) | instid1(VALU_DEP_2)
	v_fmamk_f16 v12, v0, 0xbaee, v13
	v_fmac_f16_e32 v13, 0x3aee, v0
	v_pack_b32_f16 v1, v1, v12
	s_delay_alu instid0(VALU_DEP_2) | instskip(SKIP_1) | instid1(VALU_DEP_1)
	v_pack_b32_f16 v0, v103, v13
	v_lshrrev_b32_e32 v13, 16, v108
	v_fmac_f16_e32 v14, v13, v92
	v_mul_f16_e32 v12, v13, v112
	v_mul_f16_e32 v13, v15, v113
	s_delay_alu instid0(VALU_DEP_3) | instskip(NEXT) | instid1(VALU_DEP_3)
	v_add_f16_e32 v18, v14, v16
	v_fma_f16 v12, v108, v92, -v12
	s_delay_alu instid0(VALU_DEP_3) | instskip(SKIP_3) | instid1(VALU_DEP_4)
	v_fma_f16 v6, v6, v93, -v13
	v_add_f16_e32 v19, v17, v14
	v_sub_f16_e32 v14, v14, v16
	v_fmac_f16_e32 v17, -0.5, v18
	v_add_f16_e32 v13, v12, v6
	v_sub_f16_e32 v15, v12, v6
	s_delay_alu instid0(VALU_DEP_2) | instskip(NEXT) | instid1(VALU_DEP_2)
	v_fma_f16 v13, -0.5, v13, v2
	v_fmamk_f16 v20, v15, 0xbaee, v17
	v_fmac_f16_e32 v17, 0x3aee, v15
	v_add_f16_e32 v2, v2, v12
	s_delay_alu instid0(VALU_DEP_4) | instskip(SKIP_2) | instid1(VALU_DEP_4)
	v_fmamk_f16 v18, v14, 0x3aee, v13
	v_fmac_f16_e32 v13, 0xbaee, v14
	v_lshrrev_b32_e32 v14, 16, v7
	v_add_f16_e32 v2, v2, v6
	v_add_f16_e32 v6, v19, v16
	v_pack_b32_f16 v18, v18, v20
	v_add_nc_u32_e32 v20, 0x1200, v171
	v_mul_f16_e32 v15, v14, v111
	ds_store_2addr_b32 v20, v1, v18 offset0:63 offset1:144
	v_pack_b32_f16 v1, v13, v17
	v_mul_f16_e32 v13, v109, v110
	v_fma_f16 v15, v7, v91, -v15
	v_mul_f16_e32 v7, v7, v111
	v_mov_b32_e32 v31, v20
	ds_store_2addr_b32 v205, v0, v1 offset0:105 offset1:186
	v_lshrrev_b32_e32 v0, 16, v109
	v_fmac_f16_e32 v7, v14, v91
	s_delay_alu instid0(VALU_DEP_2) | instskip(SKIP_3) | instid1(VALU_DEP_4)
	v_mul_f16_e32 v1, v0, v110
	v_fmac_f16_e32 v13, v0, v90
	v_pack_b32_f16 v0, v2, v6
	v_lshrrev_b32_e32 v6, 16, v3
	v_fma_f16 v1, v109, v90, -v1
	s_delay_alu instid0(VALU_DEP_2) | instskip(NEXT) | instid1(VALU_DEP_2)
	v_add_f16_e32 v12, v6, v13
	v_add_f16_e32 v2, v3, v1
	s_delay_alu instid0(VALU_DEP_2) | instskip(NEXT) | instid1(VALU_DEP_2)
	v_add_f16_e32 v12, v12, v7
	v_add_f16_e32 v2, v2, v15
	s_delay_alu instid0(VALU_DEP_1) | instskip(SKIP_3) | instid1(VALU_DEP_2)
	v_pack_b32_f16 v2, v2, v12
	ds_store_2addr_b32 v179, v0, v2 offset0:102 offset1:183
	v_add_f16_e32 v0, v1, v15
	v_sub_f16_e32 v2, v13, v7
	v_fmac_f16_e32 v3, -0.5, v0
	v_add_f16_e32 v0, v13, v7
	s_wait_dscnt 0xc
	v_lshrrev_b32_e32 v7, 16, v10
	v_lshrrev_b32_e32 v13, 16, v4
	s_delay_alu instid0(VALU_DEP_3) | instskip(SKIP_3) | instid1(VALU_DEP_3)
	v_fmac_f16_e32 v6, -0.5, v0
	v_sub_f16_e32 v0, v1, v15
	v_fmamk_f16 v1, v2, 0x3aee, v3
	v_fmac_f16_e32 v3, 0xbaee, v2
	v_fmamk_f16 v2, v0, 0xbaee, v6
	v_fmac_f16_e32 v6, 0x3aee, v0
	s_delay_alu instid0(VALU_DEP_2) | instskip(NEXT) | instid1(VALU_DEP_2)
	v_pack_b32_f16 v1, v1, v2
	v_pack_b32_f16 v0, v3, v6
	v_lshlrev_b32_e32 v3, 3, v99
	v_lshlrev_b32_e32 v6, 3, v98
	s_clause 0x1
	global_load_b64 v[100:101], v3, s[6:7] offset:3200
	global_load_b64 v[98:99], v6, s[6:7] offset:3200
	v_lshrrev_b32_e32 v3, 16, v8
	s_wait_loadcnt 0x1
	v_lshrrev_b32_e32 v107, 16, v100
	v_lshrrev_b32_e32 v108, 16, v101
	s_wait_loadcnt 0x0
	v_lshrrev_b32_e32 v109, 16, v98
	v_lshrrev_b32_e32 v106, 16, v99
	v_mul_f16_e32 v6, v8, v107
	v_mul_f16_e32 v12, v10, v108
	;; [unrolled: 1-line block ×3, first 2 shown]
	s_delay_alu instid0(VALU_DEP_3) | instskip(SKIP_1) | instid1(VALU_DEP_4)
	v_fmac_f16_e32 v6, v3, v100
	v_mul_f16_e32 v3, v7, v108
	v_fmac_f16_e32 v12, v7, v101
	s_delay_alu instid0(VALU_DEP_4) | instskip(NEXT) | instid1(VALU_DEP_4)
	v_fma_f16 v2, v8, v100, -v2
	v_add_f16_e32 v15, v13, v6
	s_delay_alu instid0(VALU_DEP_4) | instskip(NEXT) | instid1(VALU_DEP_4)
	v_fma_f16 v3, v10, v101, -v3
	v_add_f16_e32 v14, v6, v12
	v_sub_f16_e32 v6, v6, v12
	s_delay_alu instid0(VALU_DEP_3) | instskip(NEXT) | instid1(VALU_DEP_3)
	v_add_f16_e32 v7, v2, v3
	v_fmac_f16_e32 v13, -0.5, v14
	v_sub_f16_e32 v8, v2, v3
	v_add_f16_e32 v2, v4, v2
	s_delay_alu instid0(VALU_DEP_4) | instskip(NEXT) | instid1(VALU_DEP_3)
	v_fma_f16 v7, -0.5, v7, v4
	v_fmamk_f16 v14, v8, 0xbaee, v13
	s_delay_alu instid0(VALU_DEP_3) | instskip(SKIP_1) | instid1(VALU_DEP_4)
	v_add_f16_e32 v2, v2, v3
	v_add_f16_e32 v3, v15, v12
	v_fmamk_f16 v10, v6, 0x3aee, v7
	v_fmac_f16_e32 v7, 0xbaee, v6
	v_fmac_f16_e32 v13, 0x3aee, v8
	s_delay_alu instid0(VALU_DEP_3) | instskip(SKIP_4) | instid1(VALU_DEP_2)
	v_pack_b32_f16 v10, v10, v14
	ds_store_b32 v171, v0 offset:8748
	ds_store_2addr_b32 v144, v1, v10 offset0:97 offset1:178
	v_lshrrev_b32_e32 v0, 16, v9
	v_lshrrev_b32_e32 v10, 16, v11
	v_mul_f16_e32 v1, v0, v109
	s_delay_alu instid0(VALU_DEP_2) | instskip(NEXT) | instid1(VALU_DEP_2)
	v_mul_f16_e32 v14, v10, v106
	v_fma_f16 v1, v9, v98, -v1
	v_mul_f16_e32 v9, v9, v109
	s_delay_alu instid0(VALU_DEP_3) | instskip(SKIP_1) | instid1(VALU_DEP_3)
	v_fma_f16 v14, v11, v99, -v14
	v_mul_f16_e32 v11, v11, v106
	v_fmac_f16_e32 v9, v0, v98
	v_pack_b32_f16 v0, v2, v3
	v_lshrrev_b32_e32 v3, 16, v5
	s_delay_alu instid0(VALU_DEP_4) | instskip(SKIP_1) | instid1(VALU_DEP_3)
	v_fmac_f16_e32 v11, v10, v99
	v_add_f16_e32 v2, v5, v1
	v_add_f16_e32 v4, v3, v9
	s_delay_alu instid0(VALU_DEP_2) | instskip(NEXT) | instid1(VALU_DEP_2)
	v_add_f16_e32 v2, v2, v14
	v_add_f16_e32 v4, v4, v11
	s_delay_alu instid0(VALU_DEP_1) | instskip(SKIP_3) | instid1(VALU_DEP_2)
	v_pack_b32_f16 v2, v2, v4
	ds_store_2addr_b32 v176, v0, v2 offset0:136 offset1:217
	v_add_f16_e32 v0, v1, v14
	v_sub_f16_e32 v2, v9, v11
	v_fmac_f16_e32 v5, -0.5, v0
	v_add_f16_e32 v0, v9, v11
	s_delay_alu instid0(VALU_DEP_1) | instskip(SKIP_1) | instid1(VALU_DEP_4)
	v_fmac_f16_e32 v3, -0.5, v0
	v_sub_f16_e32 v0, v1, v14
	v_fmamk_f16 v1, v2, 0x3aee, v5
	v_fmac_f16_e32 v5, 0xbaee, v2
	s_delay_alu instid0(VALU_DEP_3) | instskip(SKIP_1) | instid1(VALU_DEP_1)
	v_fmamk_f16 v2, v0, 0xbaee, v3
	v_fmac_f16_e32 v3, 0x3aee, v0
	v_pack_b32_f16 v0, v5, v3
	v_pack_b32_f16 v3, v7, v13
	ds_store_2addr_b32 v153, v3, v0 offset0:92 offset1:173
	v_pack_b32_f16 v0, v1, v2
	ds_store_b32 v171, v0 offset:6156
	global_wb scope:SCOPE_SE
	s_wait_dscnt 0x0
	s_barrier_signal -1
	s_barrier_wait -1
	global_inv scope:SCOPE_SE
	s_clause 0x1
	global_load_b32 v0, v171, s[4:5] offset:9720
	global_load_b32 v33, v171, s[2:3] offset:9396
	ds_load_2addr_b32 v[2:3], v171 offset1:81
	s_wait_dscnt 0x0
	v_lshrrev_b32_e32 v4, 16, v2
	s_wait_loadcnt 0x1
	v_lshrrev_b32_e32 v1, 16, v0
	s_delay_alu instid0(VALU_DEP_1) | instskip(NEXT) | instid1(VALU_DEP_3)
	v_mul_f16_e32 v5, v2, v1
	v_mul_f16_e32 v1, v4, v1
	s_delay_alu instid0(VALU_DEP_2) | instskip(NEXT) | instid1(VALU_DEP_2)
	v_fmac_f16_e32 v5, v4, v0
	v_fma_f16 v0, v2, v0, -v1
	s_delay_alu instid0(VALU_DEP_1)
	v_pack_b32_f16 v0, v0, v5
	ds_store_b32 v171, v0
	s_clause 0x5
	global_load_b32 v0, v171, s[2:3] offset:972
	global_load_b32 v1, v171, s[2:3] offset:1296
	;; [unrolled: 1-line block ×6, first 2 shown]
	ds_load_2addr_b32 v[12:13], v171 offset0:162 offset1:243
	ds_load_2addr_b32 v[17:18], v150 offset0:68 offset1:149
	s_wait_dscnt 0x1
	v_lshrrev_b32_e32 v5, 16, v13
	s_wait_dscnt 0x0
	v_lshrrev_b32_e32 v8, 16, v17
	s_wait_loadcnt 0x5
	v_lshrrev_b32_e32 v2, 16, v0
	s_delay_alu instid0(VALU_DEP_1) | instskip(SKIP_1) | instid1(VALU_DEP_2)
	v_mul_f16_e32 v7, v13, v2
	v_mul_f16_e32 v2, v5, v2
	v_fmac_f16_e32 v7, v5, v0
	s_delay_alu instid0(VALU_DEP_2) | instskip(SKIP_2) | instid1(VALU_DEP_2)
	v_fma_f16 v0, v13, v0, -v2
	s_wait_loadcnt 0x4
	v_lshrrev_b32_e32 v2, 16, v1
	v_pack_b32_f16 v0, v0, v7
	s_delay_alu instid0(VALU_DEP_2) | instskip(SKIP_1) | instid1(VALU_DEP_2)
	v_mul_f16_e32 v9, v17, v2
	v_mul_f16_e32 v2, v8, v2
	v_fmac_f16_e32 v9, v8, v1
	s_delay_alu instid0(VALU_DEP_2) | instskip(SKIP_1) | instid1(VALU_DEP_2)
	v_fma_f16 v1, v17, v1, -v2
	v_add_nc_u32_e32 v2, 0x200, v171
	v_pack_b32_f16 v1, v1, v9
	ds_store_2addr_b32 v2, v0, v1 offset0:115 offset1:196
	s_clause 0x5
	global_load_b32 v0, v171, s[2:3] offset:2916
	global_load_b32 v1, v171, s[2:3] offset:3240
	;; [unrolled: 1-line block ×6, first 2 shown]
	ds_load_2addr_b32 v[27:28], v176 offset0:136 offset1:217
	ds_load_2addr_b32 v[29:30], v145 offset0:42 offset1:123
	;; [unrolled: 1-line block ×3, first 2 shown]
	s_wait_dscnt 0x2
	v_lshrrev_b32_e32 v9, 16, v28
	s_wait_dscnt 0x1
	v_lshrrev_b32_e32 v11, 16, v29
	s_wait_loadcnt 0x5
	v_lshrrev_b32_e32 v2, 16, v0
	s_delay_alu instid0(VALU_DEP_1) | instskip(SKIP_1) | instid1(VALU_DEP_2)
	v_mul_f16_e32 v10, v28, v2
	v_mul_f16_e32 v2, v9, v2
	v_fmac_f16_e32 v10, v9, v0
	s_delay_alu instid0(VALU_DEP_2) | instskip(SKIP_2) | instid1(VALU_DEP_2)
	v_fma_f16 v0, v28, v0, -v2
	s_wait_loadcnt 0x4
	v_lshrrev_b32_e32 v2, 16, v1
	v_pack_b32_f16 v0, v0, v10
	s_delay_alu instid0(VALU_DEP_2) | instskip(SKIP_1) | instid1(VALU_DEP_2)
	v_mul_f16_e32 v20, v29, v2
	v_mul_f16_e32 v2, v11, v2
	v_fmac_f16_e32 v20, v11, v1
	s_delay_alu instid0(VALU_DEP_2) | instskip(SKIP_1) | instid1(VALU_DEP_2)
	v_fma_f16 v1, v29, v1, -v2
	v_add_nc_u32_e32 v2, 0xa00, v171
	v_pack_b32_f16 v1, v1, v20
	ds_store_2addr_b32 v2, v0, v1 offset0:89 offset1:170
	global_load_b32 v0, v171, s[2:3] offset:324
	v_lshrrev_b32_e32 v1, 16, v3
	s_wait_loadcnt 0x0
	v_lshrrev_b32_e32 v2, 16, v0
	s_delay_alu instid0(VALU_DEP_1) | instskip(SKIP_1) | instid1(VALU_DEP_2)
	v_mul_f16_e32 v8, v1, v2
	v_mul_f16_e32 v20, v3, v2
	v_fma_f16 v36, v3, v0, -v8
	s_delay_alu instid0(VALU_DEP_2)
	v_fmac_f16_e32 v20, v1, v0
	global_load_b32 v0, v171, s[2:3] offset:1944
	ds_load_2addr_b32 v[2:3], v179 offset0:102 offset1:183
	s_wait_dscnt 0x0
	v_lshrrev_b32_e32 v10, 16, v2
	s_wait_loadcnt 0x0
	v_lshrrev_b32_e32 v1, 16, v0
	s_delay_alu instid0(VALU_DEP_1) | instskip(NEXT) | instid1(VALU_DEP_3)
	v_mul_f16_e32 v21, v2, v1
	v_mul_f16_e32 v1, v10, v1
	s_delay_alu instid0(VALU_DEP_2) | instskip(NEXT) | instid1(VALU_DEP_2)
	v_fmac_f16_e32 v21, v10, v0
	v_fma_f16 v34, v2, v0, -v1
	v_lshrrev_b32_e32 v1, 16, v4
	v_lshrrev_b32_e32 v0, 16, v3
	ds_load_2addr_b32 v[10:11], v144 offset0:16 offset1:97
	v_mul_f16_e32 v24, v3, v1
	v_mul_f16_e32 v2, v0, v1
	s_delay_alu instid0(VALU_DEP_2)
	v_fmac_f16_e32 v24, v0, v4
	global_load_b32 v0, v171, s[2:3] offset:3888
	v_fma_f16 v37, v3, v4, -v2
	ds_load_2addr_b32 v[2:3], v177 offset0:76 offset1:157
	s_wait_dscnt 0x0
	v_lshrrev_b32_e32 v4, 16, v2
	s_wait_loadcnt 0x0
	v_lshrrev_b32_e32 v1, 16, v0
	s_delay_alu instid0(VALU_DEP_1) | instskip(NEXT) | instid1(VALU_DEP_3)
	v_mul_f16_e32 v26, v2, v1
	v_mul_f16_e32 v1, v4, v1
	s_delay_alu instid0(VALU_DEP_2) | instskip(NEXT) | instid1(VALU_DEP_2)
	v_fmac_f16_e32 v26, v4, v0
	v_fma_f16 v35, v2, v0, -v1
	v_lshrrev_b32_e32 v1, 16, v5
	v_lshrrev_b32_e32 v0, 16, v3
	s_delay_alu instid0(VALU_DEP_2) | instskip(NEXT) | instid1(VALU_DEP_2)
	v_mul_f16_e32 v105, v3, v1
	v_mul_f16_e32 v2, v0, v1
	s_delay_alu instid0(VALU_DEP_2)
	v_fmac_f16_e32 v105, v0, v5
	global_load_b32 v0, v171, s[2:3] offset:4860
	v_fma_f16 v38, v3, v5, -v2
	v_lshrrev_b32_e32 v2, 16, v15
	s_wait_loadcnt 0x0
	v_lshrrev_b32_e32 v1, 16, v0
	s_delay_alu instid0(VALU_DEP_1) | instskip(NEXT) | instid1(VALU_DEP_3)
	v_mul_f16_e32 v5, v15, v1
	v_mul_f16_e32 v1, v2, v1
	s_delay_alu instid0(VALU_DEP_2) | instskip(NEXT) | instid1(VALU_DEP_2)
	v_fmac_f16_e32 v5, v2, v0
	v_fma_f16 v0, v15, v0, -v1
	v_lshrrev_b32_e32 v1, 16, v13
	v_lshrrev_b32_e32 v2, 16, v10
	s_delay_alu instid0(VALU_DEP_3) | instskip(NEXT) | instid1(VALU_DEP_3)
	v_pack_b32_f16 v0, v0, v5
	v_mul_f16_e32 v4, v10, v1
	s_delay_alu instid0(VALU_DEP_3) | instskip(NEXT) | instid1(VALU_DEP_2)
	v_mul_f16_e32 v1, v2, v1
	v_fmac_f16_e32 v4, v2, v13
	s_delay_alu instid0(VALU_DEP_2) | instskip(NEXT) | instid1(VALU_DEP_1)
	v_fma_f16 v1, v10, v13, -v1
	v_pack_b32_f16 v1, v1, v4
	ds_store_2addr_b32 v31, v0, v1 offset0:63 offset1:144
	s_clause 0x5
	global_load_b32 v0, v171, s[2:3] offset:5832
	global_load_b32 v1, v171, s[2:3] offset:6156
	;; [unrolled: 1-line block ×6, first 2 shown]
	ds_load_2addr_b32 v[102:103], v167 offset0:50 offset1:131
	s_wait_dscnt 0x0
	v_lshrrev_b32_e32 v104, 16, v102
	s_wait_loadcnt 0x5
	v_lshrrev_b32_e32 v13, 16, v0
	s_wait_loadcnt 0x3
	v_lshrrev_b32_e32 v5, 16, v2
	s_delay_alu instid0(VALU_DEP_2) | instskip(SKIP_1) | instid1(VALU_DEP_2)
	v_mul_f16_e64 v206, v102, v13
	v_mul_f16_e32 v13, v104, v13
	v_fmac_f16_e64 v206, v104, v0
	s_delay_alu instid0(VALU_DEP_2) | instskip(SKIP_2) | instid1(VALU_DEP_2)
	v_fma_f16 v29, v102, v0, -v13
	v_lshrrev_b32_e32 v102, 16, v1
	v_lshrrev_b32_e32 v0, 16, v103
	v_mul_f16_e32 v16, v103, v102
	s_delay_alu instid0(VALU_DEP_2) | instskip(NEXT) | instid1(VALU_DEP_2)
	v_mul_f16_e32 v104, v0, v102
	v_fmac_f16_e32 v16, v0, v1
	global_load_b32 v0, v171, s[2:3] offset:6804
	v_fma_f16 v32, v103, v1, -v104
	ds_load_2addr_b32 v[102:103], v166 offset0:84 offset1:165
	s_wait_dscnt 0x0
	v_lshrrev_b32_e32 v104, 16, v103
	s_wait_loadcnt 0x0
	v_lshrrev_b32_e32 v3, 16, v0
	s_delay_alu instid0(VALU_DEP_1) | instskip(NEXT) | instid1(VALU_DEP_3)
	v_mul_f16_e32 v1, v103, v3
	v_mul_f16_e32 v3, v104, v3
	s_delay_alu instid0(VALU_DEP_2) | instskip(NEXT) | instid1(VALU_DEP_2)
	v_fmac_f16_e32 v1, v104, v0
	v_fma_f16 v3, v103, v0, -v3
	ds_load_2addr_b32 v[103:104], v55 offset0:118 offset1:199
	v_pack_b32_f16 v1, v3, v1
	s_wait_dscnt 0x0
	v_lshrrev_b32_e32 v4, 16, v103
	v_mul_f16_e32 v0, v103, v5
	s_delay_alu instid0(VALU_DEP_2) | instskip(NEXT) | instid1(VALU_DEP_2)
	v_mul_f16_e32 v5, v4, v5
	v_fmac_f16_e32 v0, v4, v2
	s_delay_alu instid0(VALU_DEP_2) | instskip(NEXT) | instid1(VALU_DEP_1)
	v_fma_f16 v2, v103, v2, -v5
	v_pack_b32_f16 v0, v2, v0
	global_load_b32 v2, v171, s[2:3] offset:7776
	ds_store_2addr_b32 v166, v1, v0 offset0:165 offset1:246
	ds_load_2addr_b32 v[0:1], v162 offset0:152 offset1:233
	s_wait_dscnt 0x0
	v_lshrrev_b32_e32 v4, 16, v0
	s_wait_loadcnt 0x0
	v_lshrrev_b32_e32 v3, 16, v2
	s_delay_alu instid0(VALU_DEP_1) | instskip(NEXT) | instid1(VALU_DEP_3)
	v_mul_f16_e32 v10, v0, v3
	v_mul_f16_e32 v3, v4, v3
	s_delay_alu instid0(VALU_DEP_2) | instskip(NEXT) | instid1(VALU_DEP_2)
	v_fmac_f16_e32 v10, v4, v2
	v_fma_f16 v28, v0, v2, -v3
	s_clause 0x1
	global_load_b32 v0, v171, s[2:3] offset:8100
	global_load_b32 v4, v171, s[2:3] offset:9072
	v_lshrrev_b32_e32 v3, 16, v1
	global_load_b32 v103, v171, s[2:3] offset:8424
	s_wait_loadcnt 0x2
	v_lshrrev_b32_e32 v2, 16, v0
	s_delay_alu instid0(VALU_DEP_1)
	v_mul_f16_e32 v5, v3, v2
	v_mul_f16_e32 v13, v1, v2
	global_load_b32 v2, v171, s[2:3] offset:8748
	v_fma_f16 v31, v1, v0, -v5
	ds_load_2addr_b32 v[5:6], v169 offset0:58 offset1:139
	v_fmac_f16_e32 v13, v3, v0
	s_wait_dscnt 0x0
	v_lshrrev_b32_e32 v3, 16, v6
	s_wait_loadcnt 0x0
	v_lshrrev_b32_e32 v0, 16, v2
	s_delay_alu instid0(VALU_DEP_1) | instskip(NEXT) | instid1(VALU_DEP_3)
	v_mul_f16_e32 v1, v6, v0
	v_mul_f16_e32 v0, v3, v0
	s_delay_alu instid0(VALU_DEP_2) | instskip(NEXT) | instid1(VALU_DEP_2)
	v_fmac_f16_e32 v1, v3, v2
	v_fma_f16 v3, v6, v2, -v0
	ds_load_2addr_b32 v[6:7], v153 offset0:92 offset1:173
	v_lshrrev_b32_e32 v2, 16, v4
	v_pack_b32_f16 v1, v3, v1
	v_lshrrev_b32_e32 v3, 16, v23
	s_wait_dscnt 0x0
	v_lshrrev_b32_e32 v8, 16, v6
	v_mul_f16_e32 v0, v6, v2
	s_delay_alu instid0(VALU_DEP_2) | instskip(NEXT) | instid1(VALU_DEP_2)
	v_mul_f16_e32 v2, v8, v2
	v_fmac_f16_e32 v0, v8, v4
	s_delay_alu instid0(VALU_DEP_2) | instskip(NEXT) | instid1(VALU_DEP_1)
	v_fma_f16 v2, v6, v4, -v2
	v_pack_b32_f16 v0, v2, v0
	ds_store_2addr_b32 v169, v1, v0 offset0:139 offset1:220
	v_lshrrev_b32_e32 v0, 16, v12
	v_lshrrev_b32_e32 v1, 16, v22
	s_delay_alu instid0(VALU_DEP_1) | instskip(SKIP_1) | instid1(VALU_DEP_2)
	v_mul_f16_e32 v2, v0, v1
	v_mul_f16_e32 v1, v12, v1
	v_fma_f16 v2, v12, v22, -v2
	s_delay_alu instid0(VALU_DEP_2) | instskip(SKIP_1) | instid1(VALU_DEP_2)
	v_fmac_f16_e32 v1, v0, v22
	v_lshrrev_b32_e32 v0, 16, v18
	v_pack_b32_f16 v1, v2, v1
	s_delay_alu instid0(VALU_DEP_2) | instskip(SKIP_1) | instid1(VALU_DEP_2)
	v_mul_f16_e32 v4, v0, v3
	v_mul_f16_e32 v3, v18, v3
	v_fma_f16 v4, v18, v23, -v4
	s_delay_alu instid0(VALU_DEP_2)
	v_fmac_f16_e32 v3, v0, v23
	v_pack_b32_f16 v0, v36, v20
	ds_store_2addr_b32 v171, v0, v1 offset0:81 offset1:162
	v_pack_b32_f16 v0, v34, v21
	v_pack_b32_f16 v1, v4, v3
	v_lshrrev_b32_e32 v3, 16, v19
	ds_store_2addr_b32 v150, v1, v0 offset0:149 offset1:230
	v_lshrrev_b32_e32 v0, 16, v27
	v_lshrrev_b32_e32 v1, 16, v205
	s_delay_alu instid0(VALU_DEP_1) | instskip(SKIP_1) | instid1(VALU_DEP_2)
	v_mul_f16_e32 v2, v0, v1
	v_mul_f16_e32 v1, v27, v1
	v_fma_f16 v2, v27, v205, -v2
	s_delay_alu instid0(VALU_DEP_2) | instskip(SKIP_1) | instid1(VALU_DEP_2)
	v_fmac_f16_e64 v1, v0, v205
	v_lshrrev_b32_e32 v0, 16, v30
	v_pack_b32_f16 v1, v2, v1
	s_delay_alu instid0(VALU_DEP_2) | instskip(SKIP_1) | instid1(VALU_DEP_2)
	v_mul_f16_e32 v4, v0, v3
	v_mul_f16_e32 v3, v30, v3
	v_fma_f16 v4, v30, v19, -v4
	s_delay_alu instid0(VALU_DEP_2)
	v_fmac_f16_e32 v3, v0, v19
	v_pack_b32_f16 v0, v37, v24
	ds_store_2addr_b32 v176, v0, v1 offset0:55 offset1:136
	v_pack_b32_f16 v0, v35, v26
	v_pack_b32_f16 v1, v4, v3
	v_lshrrev_b32_e32 v3, 16, v9
	ds_store_2addr_b32 v145, v1, v0 offset0:123 offset1:204
	v_lshrrev_b32_e32 v0, 16, v14
	v_lshrrev_b32_e32 v1, 16, v25
	s_delay_alu instid0(VALU_DEP_1) | instskip(SKIP_1) | instid1(VALU_DEP_2)
	v_mul_f16_e32 v2, v0, v1
	v_mul_f16_e32 v1, v14, v1
	v_fma_f16 v2, v14, v25, -v2
	s_delay_alu instid0(VALU_DEP_2) | instskip(SKIP_1) | instid1(VALU_DEP_2)
	v_fmac_f16_e32 v1, v0, v25
	v_lshrrev_b32_e32 v0, 16, v11
	v_pack_b32_f16 v1, v2, v1
	s_delay_alu instid0(VALU_DEP_2) | instskip(SKIP_1) | instid1(VALU_DEP_2)
	v_mul_f16_e32 v4, v0, v3
	v_mul_f16_e32 v3, v11, v3
	v_fma_f16 v4, v11, v9, -v4
	s_delay_alu instid0(VALU_DEP_2)
	v_fmac_f16_e32 v3, v0, v9
	v_pack_b32_f16 v0, v38, v105
	ds_store_2addr_b32 v172, v0, v1 offset0:29 offset1:110
	v_pack_b32_f16 v0, v29, v206
	v_pack_b32_f16 v1, v4, v3
	v_lshrrev_b32_e32 v3, 16, v15
	ds_store_2addr_b32 v144, v1, v0 offset0:97 offset1:178
	v_lshrrev_b32_e32 v0, 16, v102
	v_lshrrev_b32_e32 v1, 16, v17
	s_delay_alu instid0(VALU_DEP_1) | instskip(SKIP_1) | instid1(VALU_DEP_2)
	v_mul_f16_e32 v2, v0, v1
	v_mul_f16_e32 v1, v102, v1
	v_fma_f16 v2, v102, v17, -v2
	s_delay_alu instid0(VALU_DEP_2) | instskip(SKIP_1) | instid1(VALU_DEP_2)
	v_fmac_f16_e32 v1, v0, v17
	;; [unrolled: 22-line block ×3, first 2 shown]
	v_lshrrev_b32_e32 v0, 16, v7
	v_pack_b32_f16 v1, v2, v1
	s_delay_alu instid0(VALU_DEP_2) | instskip(SKIP_1) | instid1(VALU_DEP_2)
	v_mul_f16_e32 v4, v0, v3
	v_mul_f16_e32 v3, v7, v3
	v_fma_f16 v4, v7, v33, -v4
	s_delay_alu instid0(VALU_DEP_2)
	v_fmac_f16_e32 v3, v0, v33
	v_pack_b32_f16 v0, v31, v13
	ds_store_2addr_b32 v39, v0, v1 offset0:105 offset1:186
	v_pack_b32_f16 v0, v4, v3
	ds_store_b32 v171, v0 offset:9396
	global_wb scope:SCOPE_SE
	s_wait_dscnt 0x0
	s_barrier_signal -1
	s_barrier_wait -1
	global_inv scope:SCOPE_SE
	ds_load_2addr_b32 v[104:105], v167 offset0:50 offset1:131
	ds_load_2addr_b32 v[102:103], v162 offset0:152 offset1:233
	;; [unrolled: 1-line block ×4, first 2 shown]
	ds_load_2addr_b32 v[205:206], v171 offset1:81
	ds_load_2addr_b32 v[48:49], v166 offset0:84 offset1:165
	ds_load_2addr_b32 v[26:27], v169 offset0:58 offset1:139
	;; [unrolled: 1-line block ×5, first 2 shown]
	s_wait_dscnt 0x9
	v_lshrrev_b32_e32 v9, 16, v104
	s_wait_dscnt 0x8
	v_sub_f16_e32 v0, v104, v102
	s_wait_dscnt 0x6
	v_sub_f16_e32 v1, v46, v15
	v_lshrrev_b32_e32 v13, 16, v46
	v_lshrrev_b32_e32 v4, 16, v15
	;; [unrolled: 1-line block ×3, first 2 shown]
	s_wait_dscnt 0x5
	v_lshrrev_b32_e32 v31, 16, v205
	v_add_f16_e32 v0, v1, v0
	v_add_f16_e32 v1, v15, v102
	v_sub_f16_e32 v54, v13, v9
	v_sub_f16_e32 v53, v4, v18
	;; [unrolled: 1-line block ×4, first 2 shown]
	v_fma_f16 v23, -0.5, v1, v205
	v_sub_f16_e32 v1, v9, v18
	s_wait_dscnt 0x1
	v_lshrrev_b32_e32 v6, 16, v41
	v_lshrrev_b32_e32 v7, 16, v49
	;; [unrolled: 1-line block ×3, first 2 shown]
	v_fmamk_f16 v29, v54, 0x3b9c, v23
	v_fmac_f16_e32 v23, 0xbb9c, v54
	v_lshrrev_b32_e32 v14, 16, v27
	v_sub_f16_e32 v22, v6, v7
	s_wait_dscnt 0x0
	v_lshrrev_b32_e32 v24, 16, v36
	v_fmac_f16_e32 v29, 0xb8b4, v53
	v_fmac_f16_e32 v23, 0x38b4, v53
	v_sub_f16_e32 v45, v17, v14
	v_sub_f16_e32 v25, v7, v14
	;; [unrolled: 1-line block ×3, first 2 shown]
	v_fmac_f16_e32 v29, 0x34f2, v0
	v_fmac_f16_e32 v23, 0x34f2, v0
	v_add_f16_e32 v0, v13, v9
	v_sub_f16_e32 v33, v44, v27
	s_delay_alu instid0(VALU_DEP_2) | instskip(SKIP_1) | instid1(VALU_DEP_1)
	v_fma_f16 v32, -0.5, v0, v31
	v_add_f16_e32 v0, v4, v18
	v_fmac_f16_e32 v31, -0.5, v0
	v_sub_f16_e32 v0, v13, v4
	v_sub_f16_e32 v4, v4, v13
	s_delay_alu instid0(VALU_DEP_3) | instskip(SKIP_1) | instid1(VALU_DEP_4)
	v_fmamk_f16 v34, v52, 0xbb9c, v31
	v_fmac_f16_e32 v31, 0x3b9c, v52
	v_add_f16_e32 v0, v0, v1
	v_sub_f16_e32 v1, v41, v44
	s_delay_alu instid0(VALU_DEP_4) | instskip(NEXT) | instid1(VALU_DEP_4)
	v_fmac_f16_e32 v34, 0x38b4, v11
	v_fmac_f16_e32 v31, 0xb8b4, v11
	s_delay_alu instid0(VALU_DEP_2) | instskip(NEXT) | instid1(VALU_DEP_2)
	v_fmac_f16_e32 v34, 0x34f2, v0
	v_fmac_f16_e32 v31, 0x34f2, v0
	v_sub_f16_e32 v0, v49, v27
	s_delay_alu instid0(VALU_DEP_1) | instskip(SKIP_1) | instid1(VALU_DEP_1)
	v_add_f16_e32 v0, v1, v0
	v_add_f16_e32 v1, v44, v27
	v_fma_f16 v1, -0.5, v1, v36
	s_delay_alu instid0(VALU_DEP_1) | instskip(SKIP_1) | instid1(VALU_DEP_2)
	v_fmamk_f16 v8, v22, 0x3b9c, v1
	v_fmac_f16_e32 v1, 0xbb9c, v22
	v_fmac_f16_e32 v8, 0xb8b4, v45
	s_delay_alu instid0(VALU_DEP_2) | instskip(NEXT) | instid1(VALU_DEP_2)
	v_fmac_f16_e32 v1, 0x38b4, v45
	v_fmac_f16_e32 v8, 0x34f2, v0
	s_delay_alu instid0(VALU_DEP_2) | instskip(SKIP_1) | instid1(VALU_DEP_1)
	v_fmac_f16_e32 v1, 0x34f2, v0
	v_add_f16_e32 v0, v6, v7
	v_fma_f16 v38, -0.5, v0, v24
	v_add_f16_e32 v0, v17, v14
	s_delay_alu instid0(VALU_DEP_1) | instskip(SKIP_1) | instid1(VALU_DEP_1)
	v_fmac_f16_e32 v24, -0.5, v0
	v_sub_f16_e32 v0, v6, v17
	v_add_f16_e32 v0, v0, v25
	s_delay_alu instid0(VALU_DEP_3) | instskip(SKIP_1) | instid1(VALU_DEP_2)
	v_fmamk_f16 v25, v42, 0xbb9c, v24
	v_fmac_f16_e32 v24, 0x3b9c, v42
	v_fmac_f16_e32 v25, 0x38b4, v33
	s_delay_alu instid0(VALU_DEP_2) | instskip(NEXT) | instid1(VALU_DEP_2)
	v_fmac_f16_e32 v24, 0xb8b4, v33
	v_fmac_f16_e32 v25, 0x34f2, v0
	s_delay_alu instid0(VALU_DEP_2) | instskip(NEXT) | instid1(VALU_DEP_2)
	v_fmac_f16_e32 v24, 0x34f2, v0
	v_mul_f16_e32 v5, 0xbb9c, v25
	s_delay_alu instid0(VALU_DEP_2) | instskip(SKIP_2) | instid1(VALU_DEP_4)
	v_mul_f16_e32 v21, 0xbb9c, v24
	v_mul_f16_e32 v12, 0xb4f2, v24
	;; [unrolled: 1-line block ×3, first 2 shown]
	v_fmac_f16_e32 v5, 0x34f2, v8
	s_delay_alu instid0(VALU_DEP_4) | instskip(NEXT) | instid1(VALU_DEP_4)
	v_fmac_f16_e32 v21, 0xb4f2, v1
	v_fmac_f16_e32 v12, 0x3b9c, v1
	s_delay_alu instid0(VALU_DEP_4) | instskip(NEXT) | instid1(VALU_DEP_3)
	v_fmac_f16_e32 v10, 0x3b9c, v8
	v_add_f16_e32 v0, v23, v21
	s_delay_alu instid0(VALU_DEP_3) | instskip(NEXT) | instid1(VALU_DEP_3)
	v_add_f16_e32 v1, v31, v12
	v_add_f16_e32 v8, v34, v10
	s_delay_alu instid0(VALU_DEP_2) | instskip(SKIP_1) | instid1(VALU_DEP_1)
	v_pack_b32_f16 v51, v0, v1
	v_add_f16_e32 v0, v29, v5
	v_pack_b32_f16 v50, v0, v8
	v_sub_f16_e32 v0, v18, v9
	v_sub_f16_e32 v8, v102, v104
	;; [unrolled: 1-line block ×3, first 2 shown]
	s_delay_alu instid0(VALU_DEP_3)
	v_add_f16_e32 v37, v4, v0
	v_sub_f16_e32 v4, v17, v6
	v_sub_f16_e32 v0, v14, v7
	;; [unrolled: 1-line block ×4, first 2 shown]
	v_add_f16_e32 v39, v9, v8
	s_delay_alu instid0(VALU_DEP_4) | instskip(SKIP_1) | instid1(VALU_DEP_4)
	v_add_f16_e32 v28, v4, v0
	v_add_f16_e32 v4, v41, v49
	;; [unrolled: 1-line block ×3, first 2 shown]
	v_pk_add_f16 v7, v36, v44
	s_delay_alu instid0(VALU_DEP_3) | instskip(SKIP_1) | instid1(VALU_DEP_3)
	v_fma_f16 v1, -0.5, v4, v36
	v_fmamk_f16 v4, v33, 0x3b9c, v38
	v_pk_add_f16 v7, v7, v41
	v_fmac_f16_e32 v38, 0xbb9c, v33
	s_delay_alu instid0(VALU_DEP_4) | instskip(NEXT) | instid1(VALU_DEP_4)
	v_fmamk_f16 v6, v45, 0xbb9c, v1
	v_fmac_f16_e32 v4, 0x38b4, v42
	s_delay_alu instid0(VALU_DEP_4)
	v_pk_add_f16 v7, v7, v49
	v_fmac_f16_e32 v1, 0x3b9c, v45
	v_fmac_f16_e32 v38, 0xb8b4, v42
	;; [unrolled: 1-line block ×4, first 2 shown]
	v_pk_add_f16 v27, v7, v27
	v_fmac_f16_e32 v1, 0x38b4, v22
	v_fmac_f16_e32 v38, 0x34f2, v28
	;; [unrolled: 1-line block ×3, first 2 shown]
	v_mul_f16_e32 v2, 0xb8b4, v4
	s_delay_alu instid0(VALU_DEP_4) | instskip(NEXT) | instid1(VALU_DEP_3)
	v_fmac_f16_e32 v1, 0x34f2, v30
	v_mul_f16_e32 v3, 0x38b4, v6
	s_delay_alu instid0(VALU_DEP_3)
	v_fmac_f16_e32 v2, 0x3a79, v6
	v_pk_add_f16 v6, v205, v15
	v_fmamk_f16 v15, v11, 0x3b9c, v32
	v_fmac_f16_e32 v32, 0xbb9c, v11
	v_fmac_f16_e32 v3, 0x3a79, v4
	v_add_f16_e32 v4, v46, v104
	v_pk_add_f16 v6, v6, v46
	v_fmac_f16_e32 v15, 0x38b4, v52
	v_fmac_f16_e32 v32, 0xb8b4, v52
	v_sub_f16_e32 v11, v16, v47
	v_fma_f16 v4, -0.5, v4, v205
	v_pk_add_f16 v6, v6, v104
	v_fmac_f16_e32 v15, 0x34f2, v37
	v_fmac_f16_e32 v32, 0x34f2, v37
	s_delay_alu instid0(VALU_DEP_4) | instskip(NEXT) | instid1(VALU_DEP_4)
	v_fmamk_f16 v0, v53, 0xbb9c, v4
	v_pk_add_f16 v36, v6, v102
	s_delay_alu instid0(VALU_DEP_4)
	v_add_f16_e32 v7, v15, v3
	v_sub_f16_e32 v3, v15, v3
	v_fmac_f16_e32 v4, 0x3b9c, v53
	v_fmac_f16_e32 v0, 0xb8b4, v54
	v_pk_add_f16 v13, v36, v27
	v_sub_f16_e32 v15, v16, v103
	s_delay_alu instid0(VALU_DEP_4) | instskip(NEXT) | instid1(VALU_DEP_4)
	v_fmac_f16_e32 v4, 0x38b4, v54
	v_fmac_f16_e32 v0, 0x34f2, v39
	s_delay_alu instid0(VALU_DEP_2) | instskip(NEXT) | instid1(VALU_DEP_2)
	v_fmac_f16_e32 v4, 0x34f2, v39
	v_add_f16_e32 v6, v0, v2
	v_sub_f16_e32 v0, v0, v2
	v_sub_f16_e32 v2, v29, v5
	;; [unrolled: 1-line block ×3, first 2 shown]
	v_lshrrev_b32_e32 v10, 16, v47
	v_pack_b32_f16 v14, v6, v7
	ds_load_2addr_b32 v[24:25], v150 offset0:68 offset1:149
	ds_load_2addr_b32 v[19:20], v145 offset0:42 offset1:123
	;; [unrolled: 1-line block ×5, first 2 shown]
	global_wb scope:SCOPE_SE
	s_wait_dscnt 0x0
	s_barrier_signal -1
	s_barrier_wait -1
	global_inv scope:SCOPE_SE
	scratch_load_b32 v41, off, off offset:248 th:TH_LOAD_LU ; 4-byte Folded Reload
	v_pack_b32_f16 v49, v0, v3
	v_mul_f16_e32 v0, 0xb8b4, v38
	s_delay_alu instid0(VALU_DEP_1)
	v_fmac_f16_e32 v0, 0xba79, v1
	v_lshrrev_b32_e32 v34, 16, v19
	v_lshrrev_b32_e32 v30, 16, v8
	v_sub_f16_e32 v44, v19, v17
	s_wait_loadcnt 0x0
	ds_store_2addr_b64 v41, v[13:14], v[50:51] offset1:1
	v_pack_b32_f16 v50, v2, v5
	v_mul_f16_e32 v2, 0xba79, v38
	v_pk_add_f16 v14, v36, v27 neg_lo:[0,1] neg_hi:[0,1]
	v_lshrrev_b32_e32 v27, 16, v206
	v_sub_f16_e32 v5, v47, v105
	v_lshrrev_b32_e32 v36, 16, v17
	v_fmac_f16_e32 v2, 0x38b4, v1
	v_add_f16_e32 v1, v4, v0
	v_sub_f16_e32 v0, v4, v0
	v_sub_f16_e32 v4, v105, v103
	;; [unrolled: 1-line block ×3, first 2 shown]
	v_add_f16_e32 v3, v32, v2
	v_lshrrev_b32_e32 v38, 16, v24
	s_delay_alu instid0(VALU_DEP_2)
	v_pack_b32_f16 v13, v1, v3
	v_sub_f16_e32 v3, v23, v21
	v_sub_f16_e32 v1, v32, v2
	;; [unrolled: 1-line block ×4, first 2 shown]
	v_lshrrev_b32_e32 v21, 16, v103
	v_lshrrev_b32_e32 v31, 16, v6
	v_pack_b32_f16 v1, v0, v1
	v_pack_b32_f16 v0, v3, v2
	ds_store_2addr_b64 v41, v[13:14], v[49:50] offset0:2 offset1:3
	v_lshrrev_b32_e32 v2, 16, v105
	v_add_f16_e32 v14, v16, v103
	v_lshrrev_b32_e32 v13, 16, v16
	ds_store_b64 v41, v[0:1] offset:32
	v_pk_add_f16 v0, v206, v16
	v_add_f16_e32 v1, v47, v105
	v_sub_f16_e32 v32, v30, v31
	v_sub_f16_e32 v22, v13, v21
	;; [unrolled: 1-line block ×3, first 2 shown]
	v_pk_add_f16 v0, v0, v47
	v_fma_f16 v23, -0.5, v1, v206
	v_sub_f16_e32 v1, v2, v21
	v_sub_f16_e32 v3, v103, v105
	s_delay_alu instid0(VALU_DEP_4) | instskip(NEXT) | instid1(VALU_DEP_2)
	v_pk_add_f16 v0, v0, v105
	v_add_f16_e32 v3, v11, v3
	v_sub_f16_e32 v11, v36, v31
	s_delay_alu instid0(VALU_DEP_3) | instskip(SKIP_3) | instid1(VALU_DEP_1)
	v_pk_add_f16 v16, v0, v103
	v_add_f16_e32 v0, v12, v4
	v_fma_f16 v4, -0.5, v14, v206
	v_sub_f16_e32 v12, v10, v2
	v_fmamk_f16 v14, v12, 0x3b9c, v4
	v_fmac_f16_e32 v4, 0xbb9c, v12
	s_delay_alu instid0(VALU_DEP_2) | instskip(NEXT) | instid1(VALU_DEP_2)
	v_fmac_f16_e32 v14, 0xb8b4, v22
	v_fmac_f16_e32 v4, 0x38b4, v22
	s_delay_alu instid0(VALU_DEP_2) | instskip(NEXT) | instid1(VALU_DEP_2)
	v_fmac_f16_e32 v14, 0x34f2, v0
	v_fmac_f16_e32 v4, 0x34f2, v0
	v_add_f16_e32 v0, v10, v2
	v_sub_f16_e32 v2, v21, v2
	s_delay_alu instid0(VALU_DEP_2) | instskip(SKIP_2) | instid1(VALU_DEP_2)
	v_fma_f16 v28, -0.5, v0, v27
	v_add_f16_e32 v0, v13, v21
	v_sub_f16_e32 v21, v19, v8
	v_fmac_f16_e32 v27, -0.5, v0
	v_sub_f16_e32 v0, v10, v13
	v_sub_f16_e32 v10, v13, v10
	;; [unrolled: 1-line block ×3, first 2 shown]
	s_delay_alu instid0(VALU_DEP_4)
	v_fmamk_f16 v29, v5, 0xbb9c, v27
	v_fmac_f16_e32 v27, 0x3b9c, v5
	v_add_f16_e32 v0, v0, v1
	v_sub_f16_e32 v1, v8, v19
	v_add_f16_e32 v2, v10, v2
	v_fmac_f16_e32 v29, 0x38b4, v15
	v_fmac_f16_e32 v27, 0xb8b4, v15
	v_sub_f16_e32 v10, v34, v30
	v_add_f16_e32 v13, v21, v13
	s_delay_alu instid0(VALU_DEP_4) | instskip(NEXT) | instid1(VALU_DEP_4)
	v_fmac_f16_e32 v29, 0x34f2, v0
	v_fmac_f16_e32 v27, 0x34f2, v0
	v_sub_f16_e32 v0, v6, v17
	v_add_f16_e32 v21, v10, v11
	v_add_f16_e32 v10, v8, v6
	s_delay_alu instid0(VALU_DEP_3) | instskip(SKIP_1) | instid1(VALU_DEP_1)
	v_add_f16_e32 v0, v1, v0
	v_add_f16_e32 v1, v19, v17
	v_fma_f16 v1, -0.5, v1, v24
	s_delay_alu instid0(VALU_DEP_1) | instskip(SKIP_1) | instid1(VALU_DEP_2)
	v_fmamk_f16 v33, v32, 0x3b9c, v1
	v_fmac_f16_e32 v1, 0xbb9c, v32
	v_fmac_f16_e32 v33, 0xb8b4, v37
	s_delay_alu instid0(VALU_DEP_2) | instskip(NEXT) | instid1(VALU_DEP_2)
	v_fmac_f16_e32 v1, 0x38b4, v37
	v_fmac_f16_e32 v33, 0x34f2, v0
	s_delay_alu instid0(VALU_DEP_2) | instskip(SKIP_1) | instid1(VALU_DEP_1)
	v_fmac_f16_e32 v1, 0x34f2, v0
	v_add_f16_e32 v0, v30, v31
	v_fma_f16 v39, -0.5, v0, v38
	v_add_f16_e32 v0, v34, v36
	s_delay_alu instid0(VALU_DEP_1) | instskip(SKIP_4) | instid1(VALU_DEP_4)
	v_fmac_f16_e32 v38, -0.5, v0
	v_sub_f16_e32 v0, v30, v34
	v_fma_f16 v30, -0.5, v10, v24
	v_fmamk_f16 v10, v44, 0x3b9c, v39
	v_fmac_f16_e32 v39, 0xbb9c, v44
	v_add_f16_e32 v0, v0, v41
	v_sub_f16_e32 v41, v8, v6
	v_fmamk_f16 v11, v37, 0xbb9c, v30
	v_fmac_f16_e32 v30, 0x3b9c, v37
	s_delay_alu instid0(VALU_DEP_3) | instskip(SKIP_1) | instid1(VALU_DEP_4)
	v_fmamk_f16 v42, v41, 0xbb9c, v38
	v_fmac_f16_e32 v38, 0x3b9c, v41
	v_fmac_f16_e32 v11, 0xb8b4, v32
	;; [unrolled: 1-line block ×12, first 2 shown]
	v_mul_f16_e32 v31, 0xb8b4, v10
	v_fmac_f16_e32 v30, 0x34f2, v13
	v_mul_f16_e32 v46, 0xbb9c, v42
	v_mul_f16_e32 v45, 0xbb9c, v38
	;; [unrolled: 1-line block ×4, first 2 shown]
	v_fmac_f16_e32 v31, 0x3a79, v11
	v_fmac_f16_e32 v46, 0x34f2, v33
	;; [unrolled: 1-line block ×5, first 2 shown]
	s_delay_alu instid0(VALU_DEP_3) | instskip(NEXT) | instid1(VALU_DEP_3)
	v_add_f16_e32 v0, v4, v45
	v_add_f16_e32 v1, v27, v38
	s_delay_alu instid0(VALU_DEP_3) | instskip(NEXT) | instid1(VALU_DEP_2)
	v_add_f16_e32 v33, v29, v42
	v_pack_b32_f16 v1, v0, v1
	v_add_f16_e32 v0, v14, v46
	s_delay_alu instid0(VALU_DEP_1) | instskip(SKIP_4) | instid1(VALU_DEP_4)
	v_pack_b32_f16 v0, v0, v33
	v_mul_f16_e32 v33, 0x38b4, v11
	v_sub_f16_e32 v11, v29, v42
	v_fmamk_f16 v29, v15, 0x3b9c, v28
	v_fmac_f16_e32 v28, 0xbb9c, v15
	v_fmac_f16_e32 v33, 0x3a79, v10
	v_sub_f16_e32 v10, v14, v46
	v_fmamk_f16 v14, v22, 0xbb9c, v23
	v_fmac_f16_e32 v23, 0x3b9c, v22
	v_fmac_f16_e32 v29, 0x38b4, v5
	;; [unrolled: 1-line block ×3, first 2 shown]
	v_pack_b32_f16 v11, v10, v11
	v_fmac_f16_e32 v14, 0xb8b4, v12
	v_fmac_f16_e32 v23, 0x38b4, v12
	v_pk_add_f16 v12, v24, v19
	v_fmac_f16_e32 v29, 0x34f2, v2
	v_fmac_f16_e32 v28, 0x34f2, v2
	;; [unrolled: 1-line block ×4, first 2 shown]
	v_pk_add_f16 v8, v12, v8
	v_mul_f16_e32 v2, 0xb8b4, v39
	v_mul_f16_e32 v3, 0xba79, v39
	v_sub_f16_e32 v10, v14, v31
	v_add_f16_e32 v14, v14, v31
	v_pk_add_f16 v6, v8, v6
	v_add_f16_e32 v5, v29, v33
	v_fmac_f16_e32 v2, 0xba79, v30
	v_fmac_f16_e32 v3, 0x38b4, v30
	v_sub_f16_e32 v34, v29, v33
	v_pk_add_f16 v6, v6, v17
	v_pack_b32_f16 v14, v14, v5
	v_add_f16_e32 v5, v23, v2
	v_add_f16_e32 v12, v43, v26
	v_pack_b32_f16 v10, v10, v34
	v_pk_add_f16 v13, v16, v6
	v_pk_add_f16 v16, v16, v6 neg_lo:[0,1] neg_hi:[0,1]
	v_add_f16_e32 v6, v28, v3
	v_lshrrev_b32_e32 v19, 16, v35
	v_sub_f16_e32 v24, v18, v7
	v_add_f16_e32 v30, v20, v18
	v_lshrrev_b32_e32 v29, 16, v20
	v_pack_b32_f16 v15, v5, v6
	ds_store_2addr_b64 v183, v[13:14], v[0:1] offset1:1
	ds_store_2addr_b64 v183, v[15:16], v[10:11] offset0:2 offset1:3
	v_sub_f16_e32 v0, v4, v45
	v_sub_f16_e32 v1, v23, v2
	;; [unrolled: 1-line block ×5, first 2 shown]
	v_lshrrev_b32_e32 v6, 16, v40
	v_sub_f16_e32 v10, v40, v43
	v_pack_b32_f16 v1, v1, v2
	v_pack_b32_f16 v0, v0, v3
	v_lshrrev_b32_e32 v2, 16, v48
	v_lshrrev_b32_e32 v11, 16, v43
	;; [unrolled: 1-line block ×3, first 2 shown]
	v_sub_f16_e32 v5, v40, v48
	ds_store_b64 v183, v[0:1] offset:32
	v_pk_add_f16 v0, v35, v43
	v_add_f16_e32 v1, v40, v48
	v_sub_f16_e32 v16, v11, v15
	v_sub_f16_e32 v13, v43, v26
	;; [unrolled: 1-line block ×3, first 2 shown]
	v_pk_add_f16 v0, v0, v40
	v_fma_f16 v17, -0.5, v1, v35
	v_sub_f16_e32 v1, v2, v15
	v_lshrrev_b32_e32 v23, 16, v7
	v_lshrrev_b32_e32 v27, 16, v9
	v_pk_add_f16 v0, v0, v48
	v_sub_f16_e32 v28, v20, v9
	v_sub_f16_e32 v8, v43, v40
	s_delay_alu instid0(VALU_DEP_3)
	v_pk_add_f16 v14, v0, v26
	v_add_f16_e32 v0, v10, v4
	v_fma_f16 v10, -0.5, v12, v35
	v_sub_f16_e32 v4, v6, v2
	v_sub_f16_e32 v26, v7, v18
	v_add_f16_e32 v8, v8, v3
	s_delay_alu instid0(VALU_DEP_3) | instskip(SKIP_1) | instid1(VALU_DEP_2)
	v_fmamk_f16 v12, v4, 0x3b9c, v10
	v_fmac_f16_e32 v10, 0xbb9c, v4
	v_fmac_f16_e32 v12, 0xb8b4, v16
	s_delay_alu instid0(VALU_DEP_2) | instskip(NEXT) | instid1(VALU_DEP_2)
	v_fmac_f16_e32 v10, 0x38b4, v16
	v_fmac_f16_e32 v12, 0x34f2, v0
	s_delay_alu instid0(VALU_DEP_2) | instskip(SKIP_2) | instid1(VALU_DEP_2)
	v_fmac_f16_e32 v10, 0x34f2, v0
	v_add_f16_e32 v0, v6, v2
	v_sub_f16_e32 v2, v15, v2
	v_fma_f16 v21, -0.5, v0, v19
	v_add_f16_e32 v0, v11, v15
	s_delay_alu instid0(VALU_DEP_1) | instskip(SKIP_3) | instid1(VALU_DEP_4)
	v_fmac_f16_e32 v19, -0.5, v0
	v_sub_f16_e32 v0, v6, v11
	v_sub_f16_e32 v6, v11, v6
	;; [unrolled: 1-line block ×3, first 2 shown]
	v_fmamk_f16 v22, v5, 0xbb9c, v19
	v_fmac_f16_e32 v19, 0x3b9c, v5
	v_add_f16_e32 v0, v0, v1
	v_add_f16_e32 v1, v9, v7
	;; [unrolled: 1-line block ×3, first 2 shown]
	v_fmac_f16_e32 v22, 0x38b4, v13
	v_fmac_f16_e32 v19, 0xb8b4, v13
	s_delay_alu instid0(VALU_DEP_4) | instskip(SKIP_1) | instid1(VALU_DEP_4)
	v_fma_f16 v33, -0.5, v1, v25
	v_add_f16_e32 v1, v27, v23
	v_fmac_f16_e32 v22, 0x34f2, v0
	s_delay_alu instid0(VALU_DEP_4) | instskip(SKIP_1) | instid1(VALU_DEP_1)
	v_fmac_f16_e32 v19, 0x34f2, v0
	v_pk_add_f16 v0, v25, v20
	v_pk_add_f16 v0, v0, v9
	s_delay_alu instid0(VALU_DEP_1) | instskip(SKIP_3) | instid1(VALU_DEP_4)
	v_pk_add_f16 v0, v0, v7
	v_sub_f16_e32 v7, v9, v7
	v_sub_f16_e32 v9, v9, v20
	;; [unrolled: 1-line block ×3, first 2 shown]
	v_pk_add_f16 v31, v0, v18
	v_lshrrev_b32_e32 v18, 16, v18
	s_delay_alu instid0(VALU_DEP_4) | instskip(SKIP_2) | instid1(VALU_DEP_4)
	v_add_f16_e32 v0, v9, v26
	v_fma_f16 v9, -0.5, v30, v25
	v_sub_f16_e32 v26, v27, v23
	v_sub_f16_e32 v32, v29, v18
	;; [unrolled: 1-line block ×4, first 2 shown]
	s_delay_alu instid0(VALU_DEP_4)
	v_fmamk_f16 v30, v26, 0x3b9c, v9
	v_fmac_f16_e32 v9, 0xbb9c, v26
	v_fmamk_f16 v3, v32, 0xbb9c, v33
	v_fmac_f16_e32 v33, 0x3b9c, v32
	v_add_f16_e32 v11, v11, v15
	v_fmac_f16_e32 v30, 0xb8b4, v32
	v_fmac_f16_e32 v9, 0x38b4, v32
	;; [unrolled: 1-line block ×4, first 2 shown]
	s_delay_alu instid0(VALU_DEP_4) | instskip(NEXT) | instid1(VALU_DEP_4)
	v_fmac_f16_e32 v30, 0x34f2, v0
	v_fmac_f16_e32 v9, 0x34f2, v0
	v_lshrrev_b32_e32 v0, 16, v25
	s_delay_alu instid0(VALU_DEP_1) | instskip(SKIP_2) | instid1(VALU_DEP_3)
	v_fma_f16 v25, -0.5, v1, v0
	v_add_f16_e32 v1, v29, v18
	v_add_f16_e32 v18, v28, v24
	v_fmamk_f16 v2, v20, 0x3b9c, v25
	s_delay_alu instid0(VALU_DEP_3) | instskip(SKIP_1) | instid1(VALU_DEP_4)
	v_fmac_f16_e32 v0, -0.5, v1
	v_sub_f16_e32 v1, v27, v29
	v_fmac_f16_e32 v3, 0x34f2, v18
	v_fmac_f16_e32 v25, 0xbb9c, v20
	;; [unrolled: 1-line block ×4, first 2 shown]
	v_add_f16_e32 v1, v1, v34
	v_fmamk_f16 v34, v7, 0xbb9c, v0
	v_fmac_f16_e32 v0, 0x3b9c, v7
	v_fmac_f16_e32 v2, 0x34f2, v11
	v_mul_f16_e32 v23, 0x38b4, v3
	v_fmac_f16_e32 v25, 0xb8b4, v7
	v_fmac_f16_e32 v34, 0x38b4, v20
	;; [unrolled: 1-line block ×3, first 2 shown]
	v_mul_f16_e32 v15, 0xb8b4, v2
	v_fmac_f16_e32 v23, 0x3a79, v2
	v_fmac_f16_e32 v25, 0x34f2, v11
	;; [unrolled: 1-line block ×5, first 2 shown]
	s_delay_alu instid0(VALU_DEP_2) | instskip(SKIP_1) | instid1(VALU_DEP_2)
	v_mul_f16_e32 v35, 0xbb9c, v0
	v_mul_f16_e32 v36, 0xb4f2, v0
	v_fmac_f16_e32 v35, 0xb4f2, v9
	s_delay_alu instid0(VALU_DEP_2) | instskip(SKIP_2) | instid1(VALU_DEP_4)
	v_fmac_f16_e32 v36, 0x3b9c, v9
	v_mul_f16_e32 v9, 0xbb9c, v34
	v_mul_f16_e32 v34, 0x34f2, v34
	v_add_f16_e32 v0, v10, v35
	s_delay_alu instid0(VALU_DEP_4) | instskip(NEXT) | instid1(VALU_DEP_4)
	v_add_f16_e32 v1, v19, v36
	v_fmac_f16_e32 v9, 0x34f2, v30
	s_delay_alu instid0(VALU_DEP_4) | instskip(NEXT) | instid1(VALU_DEP_3)
	v_fmac_f16_e32 v34, 0x3b9c, v30
	v_pack_b32_f16 v1, v0, v1
	s_delay_alu instid0(VALU_DEP_3)
	v_add_f16_e32 v0, v12, v9
	v_sub_f16_e32 v2, v12, v9
	v_fmamk_f16 v9, v16, 0xbb9c, v17
	v_fmac_f16_e32 v17, 0x3b9c, v16
	v_fmamk_f16 v12, v13, 0x3b9c, v21
	v_sub_f16_e32 v3, v22, v34
	v_fmac_f16_e32 v21, 0xbb9c, v13
	v_fmac_f16_e32 v9, 0xb8b4, v4
	;; [unrolled: 1-line block ×4, first 2 shown]
	v_pack_b32_f16 v3, v2, v3
	v_fmac_f16_e32 v21, 0xb8b4, v5
	v_fmac_f16_e32 v9, 0x34f2, v8
	;; [unrolled: 1-line block ×3, first 2 shown]
	v_mul_f16_e32 v8, 0xb8b4, v25
	v_fmac_f16_e32 v12, 0x34f2, v6
	v_fmac_f16_e32 v21, 0x34f2, v6
	v_sub_f16_e32 v2, v9, v15
	v_add_f16_e32 v7, v9, v15
	v_mul_f16_e32 v9, 0xba79, v25
	v_fmac_f16_e32 v8, 0xba79, v33
	v_add_f16_e32 v30, v22, v34
	v_add_f16_e32 v4, v12, v23
	v_sub_f16_e32 v22, v12, v23
	v_fmac_f16_e32 v9, 0x38b4, v33
	v_add_f16_e32 v6, v17, v8
	v_pack_b32_f16 v0, v0, v30
	v_pack_b32_f16 v5, v7, v4
	v_pk_add_f16 v4, v14, v31
	v_add_f16_e32 v11, v21, v9
	v_pack_b32_f16 v2, v2, v22
	v_pk_add_f16 v7, v14, v31 neg_lo:[0,1] neg_hi:[0,1]
	s_delay_alu instid0(VALU_DEP_3)
	v_pack_b32_f16 v6, v6, v11
	ds_store_2addr_b64 v182, v[4:5], v[0:1] offset1:1
	ds_store_2addr_b64 v182, v[6:7], v[2:3] offset0:2 offset1:3
	v_sub_f16_e32 v0, v10, v35
	v_sub_f16_e32 v1, v17, v8
	;; [unrolled: 1-line block ×4, first 2 shown]
	s_delay_alu instid0(VALU_DEP_2) | instskip(NEXT) | instid1(VALU_DEP_2)
	v_pack_b32_f16 v1, v1, v2
	v_pack_b32_f16 v0, v0, v3
	ds_store_b64 v182, v[0:1] offset:32
	global_wb scope:SCOPE_SE
	s_wait_dscnt 0x0
	s_barrier_signal -1
	s_barrier_wait -1
	global_inv scope:SCOPE_SE
	ds_load_2addr_b32 v[0:1], v145 offset0:42 offset1:123
	s_wait_dscnt 0x0
	v_lshrrev_b32_e32 v2, 16, v0
	v_mul_f16_e64 v3, v253, v0
	s_delay_alu instid0(VALU_DEP_2) | instskip(NEXT) | instid1(VALU_DEP_2)
	v_mul_f16_e64 v4, v253, v2
	v_fma_f16 v5, v74, v2, -v3
	ds_load_2addr_b32 v[2:3], v166 offset0:84 offset1:165
	v_fmac_f16_e32 v4, v74, v0
	v_lshrrev_b32_e32 v0, 16, v1
	s_delay_alu instid0(VALU_DEP_1) | instskip(NEXT) | instid1(VALU_DEP_1)
	v_mul_f16_e64 v10, v242, v0
	v_fmac_f16_e32 v10, v70, v1
	v_mul_f16_e64 v1, v242, v1
	s_wait_dscnt 0x0
	v_lshrrev_b32_e32 v6, 16, v2
	s_delay_alu instid0(VALU_DEP_2) | instskip(SKIP_3) | instid1(VALU_DEP_2)
	v_fma_f16 v12, v70, v0, -v1
	ds_load_2addr_b32 v[0:1], v177 offset0:76 offset1:157
	v_mul_f16_e64 v7, v252, v2
	v_mul_f16_e64 v8, v252, v6
	v_fma_f16 v6, v75, v6, -v7
	v_mul_f16_e64 v7, v178, v3
	s_delay_alu instid0(VALU_DEP_3) | instskip(SKIP_1) | instid1(VALU_DEP_4)
	v_fmac_f16_e32 v8, v75, v2
	v_lshrrev_b32_e32 v2, 16, v3
	v_sub_f16_e32 v47, v5, v6
	s_delay_alu instid0(VALU_DEP_3) | instskip(NEXT) | instid1(VALU_DEP_3)
	v_sub_f16_e32 v48, v4, v8
	v_mul_f16_e64 v11, v178, v2
	v_fma_f16 v13, v71, v2, -v7
	s_delay_alu instid0(VALU_DEP_2) | instskip(SKIP_3) | instid1(VALU_DEP_2)
	v_fmac_f16_e32 v11, v71, v3
	s_wait_dscnt 0x0
	v_lshrrev_b32_e32 v2, 16, v0
	v_mul_f16_e64 v3, v195, v0
	v_mul_f16_e64 v14, v195, v2
	s_delay_alu instid0(VALU_DEP_2) | instskip(SKIP_3) | instid1(VALU_DEP_1)
	v_fma_f16 v15, v64, v2, -v3
	ds_load_2addr_b32 v[2:3], v55 offset0:118 offset1:199
	v_fmac_f16_e32 v14, v64, v0
	v_lshrrev_b32_e32 v0, 16, v1
	v_mul_f16_e64 v18, v191, v0
	s_delay_alu instid0(VALU_DEP_1) | instskip(SKIP_3) | instid1(VALU_DEP_2)
	v_fmac_f16_e32 v18, v60, v1
	v_mul_f16_e64 v1, v191, v1
	s_wait_dscnt 0x0
	v_lshrrev_b32_e32 v7, 16, v2
	v_fma_f16 v20, v60, v0, -v1
	ds_load_2addr_b32 v[0:1], v172 offset0:110 offset1:191
	v_mul_f16_e64 v9, v196, v2
	v_mul_f16_e64 v16, v196, v7
	s_delay_alu instid0(VALU_DEP_2) | instskip(SKIP_1) | instid1(VALU_DEP_3)
	v_fma_f16 v17, v65, v7, -v9
	v_mul_f16_e64 v7, v193, v3
	v_fmac_f16_e32 v16, v65, v2
	v_lshrrev_b32_e32 v2, 16, v3
	s_delay_alu instid0(VALU_DEP_1) | instskip(NEXT) | instid1(VALU_DEP_4)
	v_mul_f16_e64 v19, v193, v2
	v_fma_f16 v21, v61, v2, -v7
	s_delay_alu instid0(VALU_DEP_2) | instskip(SKIP_3) | instid1(VALU_DEP_2)
	v_fmac_f16_e32 v19, v61, v3
	s_wait_dscnt 0x0
	v_lshrrev_b32_e32 v2, 16, v0
	v_mul_f16_e64 v3, v189, v0
	v_mul_f16_e64 v22, v189, v2
	s_delay_alu instid0(VALU_DEP_2) | instskip(SKIP_3) | instid1(VALU_DEP_1)
	v_fma_f16 v23, v80, v2, -v3
	ds_load_2addr_b32 v[2:3], v162 offset0:152 offset1:233
	v_fmac_f16_e32 v22, v80, v0
	v_lshrrev_b32_e32 v0, 16, v1
	v_mul_f16_e64 v26, v185, v0
	s_delay_alu instid0(VALU_DEP_1) | instskip(SKIP_3) | instid1(VALU_DEP_2)
	v_fmac_f16_e32 v26, v78, v1
	v_mul_f16_e64 v1, v185, v1
	s_wait_dscnt 0x0
	v_lshrrev_b32_e32 v7, 16, v2
	v_fma_f16 v28, v78, v0, -v1
	ds_load_2addr_b32 v[0:1], v144 offset0:16 offset1:97
	v_mul_f16_e64 v9, v170, v2
	v_mul_f16_e64 v24, v170, v7
	s_delay_alu instid0(VALU_DEP_2) | instskip(SKIP_1) | instid1(VALU_DEP_3)
	v_fma_f16 v25, v81, v7, -v9
	v_mul_f16_e64 v7, v168, v3
	v_fmac_f16_e32 v24, v81, v2
	v_lshrrev_b32_e32 v2, 16, v3
	s_delay_alu instid0(VALU_DEP_1) | instskip(NEXT) | instid1(VALU_DEP_4)
	;; [unrolled: 29-line block ×3, first 2 shown]
	v_mul_f16_e64 v35, v160, v2
	v_fma_f16 v37, v67, v2, -v7
	s_delay_alu instid0(VALU_DEP_2) | instskip(SKIP_3) | instid1(VALU_DEP_2)
	v_fmac_f16_e32 v35, v67, v3
	s_wait_dscnt 0x0
	v_lshrrev_b32_e32 v2, 16, v0
	v_mul_f16_e64 v3, v147, v0
	v_mul_f16_e64 v38, v147, v2
	s_delay_alu instid0(VALU_DEP_2) | instskip(SKIP_3) | instid1(VALU_DEP_1)
	v_fma_f16 v39, v62, v2, -v3
	ds_load_2addr_b32 v[2:3], v153 offset0:92 offset1:173
	v_fmac_f16_e32 v38, v62, v0
	v_lshrrev_b32_e32 v0, 16, v1
	v_mul_f16_e64 v42, v146, v0
	s_delay_alu instid0(VALU_DEP_1) | instskip(SKIP_3) | instid1(VALU_DEP_2)
	v_fmac_f16_e32 v42, v58, v1
	v_mul_f16_e64 v1, v146, v1
	s_wait_dscnt 0x0
	v_lshrrev_b32_e32 v7, 16, v2
	v_fma_f16 v44, v58, v0, -v1
	ds_load_2addr_b32 v[0:1], v171 offset1:81
	v_mul_f16_e64 v9, v152, v2
	v_mul_f16_e64 v40, v152, v7
	s_delay_alu instid0(VALU_DEP_2) | instskip(SKIP_1) | instid1(VALU_DEP_3)
	v_fma_f16 v41, v63, v7, -v9
	v_mul_f16_e64 v7, v151, v3
	v_fmac_f16_e32 v40, v63, v2
	v_lshrrev_b32_e32 v2, 16, v3
	s_delay_alu instid0(VALU_DEP_1) | instskip(NEXT) | instid1(VALU_DEP_4)
	v_mul_f16_e64 v43, v151, v2
	v_fma_f16 v45, v59, v2, -v7
	s_delay_alu instid0(VALU_DEP_2) | instskip(SKIP_3) | instid1(VALU_DEP_2)
	v_fmac_f16_e32 v43, v59, v3
	s_wait_dscnt 0x0
	v_lshrrev_b32_e32 v46, 16, v0
	v_add_f16_e32 v3, v5, v6
	v_add_f16_e32 v2, v46, v5
	s_delay_alu instid0(VALU_DEP_2) | instskip(SKIP_2) | instid1(VALU_DEP_4)
	v_fmac_f16_e32 v46, -0.5, v3
	v_add_f16_e32 v3, v0, v4
	v_add_f16_e32 v5, v4, v8
	;; [unrolled: 1-line block ×3, first 2 shown]
	s_delay_alu instid0(VALU_DEP_3) | instskip(NEXT) | instid1(VALU_DEP_3)
	v_add_f16_e32 v3, v3, v8
	v_fma_f16 v0, -0.5, v5, v0
	s_delay_alu instid0(VALU_DEP_2) | instskip(NEXT) | instid1(VALU_DEP_2)
	v_pack_b32_f16 v49, v3, v2
	v_fmamk_f16 v2, v47, 0xbaee, v0
	v_fmamk_f16 v3, v48, 0x3aee, v46
	v_fmac_f16_e32 v0, 0x3aee, v47
	v_fmac_f16_e32 v46, 0xbaee, v48
	v_add_f16_e32 v47, v1, v10
	s_delay_alu instid0(VALU_DEP_4)
	v_pack_b32_f16 v50, v2, v3
	ds_load_2addr_b32 v[2:3], v171 offset0:162 offset1:243
	ds_load_2addr_b32 v[4:5], v150 offset0:68 offset1:149
	;; [unrolled: 1-line block ×4, first 2 shown]
	global_wb scope:SCOPE_SE
	s_wait_dscnt 0x0
	s_barrier_signal -1
	s_barrier_wait -1
	global_inv scope:SCOPE_SE
	scratch_load_b32 v51, off, off offset:332 th:TH_LOAD_LU ; 4-byte Folded Reload
	v_pack_b32_f16 v0, v0, v46
	v_lshrrev_b32_e32 v46, 16, v1
	s_wait_loadcnt 0x0
	ds_store_b32 v51, v0 offset:80
	v_add_f16_e32 v0, v10, v11
	ds_store_2addr_b32 v51, v49, v50 offset1:10
	v_fmac_f16_e32 v1, -0.5, v0
	v_sub_f16_e32 v0, v12, v13
	s_delay_alu instid0(VALU_DEP_1) | instskip(SKIP_3) | instid1(VALU_DEP_2)
	v_fmamk_f16 v48, v0, 0xbaee, v1
	v_fmac_f16_e32 v1, 0x3aee, v0
	v_add_f16_e32 v0, v12, v13
	v_add_f16_e32 v12, v46, v12
	v_fmac_f16_e32 v46, -0.5, v0
	v_sub_f16_e32 v0, v10, v11
	s_delay_alu instid0(VALU_DEP_1) | instskip(SKIP_1) | instid1(VALU_DEP_2)
	v_fmamk_f16 v10, v0, 0x3aee, v46
	v_fmac_f16_e32 v46, 0xbaee, v0
	v_pack_b32_f16 v10, v48, v10
	s_delay_alu instid0(VALU_DEP_2) | instskip(SKIP_4) | instid1(VALU_DEP_3)
	v_pack_b32_f16 v0, v1, v46
	v_add_f16_e32 v1, v47, v11
	v_add_f16_e32 v11, v12, v13
	;; [unrolled: 1-line block ×3, first 2 shown]
	v_sub_f16_e32 v13, v14, v16
	v_pack_b32_f16 v1, v1, v11
	scratch_load_b32 v11, off, off offset:336 th:TH_LOAD_LU ; 4-byte Folded Reload
	s_wait_loadcnt 0x0
	ds_store_2addr_b32 v11, v1, v10 offset1:10
	ds_store_b32 v11, v0 offset:80
	v_lshrrev_b32_e32 v0, 16, v2
	v_add_f16_e32 v10, v15, v17
	v_sub_f16_e32 v11, v15, v17
	s_delay_alu instid0(VALU_DEP_3) | instskip(NEXT) | instid1(VALU_DEP_3)
	v_add_f16_e32 v1, v0, v15
	v_fmac_f16_e32 v0, -0.5, v10
	v_add_f16_e32 v10, v2, v14
	v_fma_f16 v2, -0.5, v12, v2
	s_delay_alu instid0(VALU_DEP_4) | instskip(NEXT) | instid1(VALU_DEP_4)
	v_add_f16_e32 v1, v1, v17
	v_fmamk_f16 v12, v13, 0x3aee, v0
	s_delay_alu instid0(VALU_DEP_4) | instskip(SKIP_1) | instid1(VALU_DEP_2)
	v_add_f16_e32 v10, v10, v16
	v_fmac_f16_e32 v0, 0xbaee, v13
	v_pack_b32_f16 v1, v10, v1
	v_fmamk_f16 v10, v11, 0xbaee, v2
	v_fmac_f16_e32 v2, 0x3aee, v11
	s_delay_alu instid0(VALU_DEP_2)
	v_pack_b32_f16 v10, v10, v12
	scratch_load_b32 v12, off, off offset:340 th:TH_LOAD_LU ; 4-byte Folded Reload
	v_pack_b32_f16 v0, v2, v0
	v_add_f16_e32 v2, v3, v18
	s_wait_loadcnt 0x0
	ds_store_b32 v12, v0 offset:80
	v_add_f16_e32 v0, v18, v19
	ds_store_2addr_b32 v12, v1, v10 offset1:10
	v_lshrrev_b32_e32 v1, 16, v3
	v_fmac_f16_e32 v3, -0.5, v0
	v_sub_f16_e32 v0, v20, v21
	s_delay_alu instid0(VALU_DEP_3) | instskip(NEXT) | instid1(VALU_DEP_2)
	v_add_f16_e32 v11, v1, v20
	v_fmamk_f16 v10, v0, 0xbaee, v3
	v_fmac_f16_e32 v3, 0x3aee, v0
	v_add_f16_e32 v0, v20, v21
	s_delay_alu instid0(VALU_DEP_1) | instskip(SKIP_1) | instid1(VALU_DEP_1)
	v_fmac_f16_e32 v1, -0.5, v0
	v_sub_f16_e32 v0, v18, v19
	v_fmamk_f16 v12, v0, 0x3aee, v1
	v_fmac_f16_e32 v1, 0xbaee, v0
	s_delay_alu instid0(VALU_DEP_1) | instskip(SKIP_4) | instid1(VALU_DEP_2)
	v_pack_b32_f16 v0, v3, v1
	scratch_load_b32 v3, off, off offset:344 th:TH_LOAD_LU ; 4-byte Folded Reload
	v_add_f16_e32 v1, v2, v19
	v_add_f16_e32 v2, v11, v21
	v_sub_f16_e32 v11, v22, v24
	v_pack_b32_f16 v1, v1, v2
	v_pack_b32_f16 v2, v10, v12
	s_wait_loadcnt 0x0
	ds_store_2addr_b32 v3, v1, v2 offset1:10
	ds_store_b32 v3, v0 offset:80
	v_lshrrev_b32_e32 v0, 16, v4
	v_add_f16_e32 v2, v23, v25
	v_add_f16_e32 v10, v22, v24
	v_sub_f16_e32 v3, v23, v25
	s_delay_alu instid0(VALU_DEP_4) | instskip(NEXT) | instid1(VALU_DEP_4)
	v_add_f16_e32 v1, v0, v23
	v_fmac_f16_e32 v0, -0.5, v2
	v_add_f16_e32 v2, v4, v22
	s_delay_alu instid0(VALU_DEP_3) | instskip(NEXT) | instid1(VALU_DEP_2)
	v_add_f16_e32 v1, v1, v25
	v_add_f16_e32 v2, v2, v24
	s_delay_alu instid0(VALU_DEP_1) | instskip(SKIP_3) | instid1(VALU_DEP_3)
	v_pack_b32_f16 v1, v2, v1
	v_fma_f16 v2, -0.5, v10, v4
	v_fmamk_f16 v10, v11, 0x3aee, v0
	v_fmac_f16_e32 v0, 0xbaee, v11
	v_fmamk_f16 v4, v3, 0xbaee, v2
	v_fmac_f16_e32 v2, 0x3aee, v3
	s_delay_alu instid0(VALU_DEP_2)
	v_pack_b32_f16 v4, v4, v10
	scratch_load_b32 v10, off, off offset:348 th:TH_LOAD_LU ; 4-byte Folded Reload
	v_pack_b32_f16 v0, v2, v0
	v_add_f16_e32 v2, v5, v26
	s_wait_loadcnt 0x0
	ds_store_b32 v10, v0 offset:80
	v_add_f16_e32 v0, v26, v27
	ds_store_2addr_b32 v10, v1, v4 offset1:10
	v_lshrrev_b32_e32 v1, 16, v5
	v_fmac_f16_e32 v5, -0.5, v0
	v_sub_f16_e32 v0, v28, v29
	s_delay_alu instid0(VALU_DEP_3) | instskip(NEXT) | instid1(VALU_DEP_2)
	v_add_f16_e32 v4, v1, v28
	v_fmamk_f16 v3, v0, 0xbaee, v5
	v_fmac_f16_e32 v5, 0x3aee, v0
	v_add_f16_e32 v0, v28, v29
	s_delay_alu instid0(VALU_DEP_1) | instskip(SKIP_1) | instid1(VALU_DEP_1)
	v_fmac_f16_e32 v1, -0.5, v0
	v_sub_f16_e32 v0, v26, v27
	v_fmamk_f16 v10, v0, 0x3aee, v1
	v_fmac_f16_e32 v1, 0xbaee, v0
	s_delay_alu instid0(VALU_DEP_1) | instskip(SKIP_4) | instid1(VALU_DEP_3)
	v_pack_b32_f16 v0, v5, v1
	v_add_f16_e32 v1, v2, v27
	v_add_f16_e32 v2, v4, v29
	;; [unrolled: 1-line block ×3, first 2 shown]
	v_sub_f16_e32 v5, v30, v32
	v_pack_b32_f16 v1, v1, v2
	v_pack_b32_f16 v2, v3, v10
	scratch_load_b32 v3, off, off offset:352 th:TH_LOAD_LU ; 4-byte Folded Reload
	s_wait_loadcnt 0x0
	ds_store_2addr_b32 v3, v1, v2 offset1:10
	ds_store_b32 v3, v0 offset:80
	v_lshrrev_b32_e32 v0, 16, v6
	v_add_f16_e32 v2, v31, v33
	v_sub_f16_e32 v3, v31, v33
	s_delay_alu instid0(VALU_DEP_3) | instskip(NEXT) | instid1(VALU_DEP_3)
	v_add_f16_e32 v1, v0, v31
	v_fmac_f16_e32 v0, -0.5, v2
	v_add_f16_e32 v2, v6, v30
	s_delay_alu instid0(VALU_DEP_3) | instskip(NEXT) | instid1(VALU_DEP_2)
	v_add_f16_e32 v1, v1, v33
	v_add_f16_e32 v2, v2, v32
	s_delay_alu instid0(VALU_DEP_1) | instskip(SKIP_3) | instid1(VALU_DEP_3)
	v_pack_b32_f16 v1, v2, v1
	v_fma_f16 v2, -0.5, v4, v6
	v_fmamk_f16 v6, v5, 0x3aee, v0
	v_fmac_f16_e32 v0, 0xbaee, v5
	v_fmamk_f16 v4, v3, 0xbaee, v2
	v_fmac_f16_e32 v2, 0x3aee, v3
	s_delay_alu instid0(VALU_DEP_2)
	v_pack_b32_f16 v4, v4, v6
	scratch_load_b32 v6, off, off offset:356 th:TH_LOAD_LU ; 4-byte Folded Reload
	v_pack_b32_f16 v0, v2, v0
	v_add_f16_e32 v2, v7, v34
	s_wait_loadcnt 0x0
	ds_store_b32 v6, v0 offset:80
	v_add_f16_e32 v0, v34, v35
	ds_store_2addr_b32 v6, v1, v4 offset1:10
	v_lshrrev_b32_e32 v1, 16, v7
	v_fmac_f16_e32 v7, -0.5, v0
	v_sub_f16_e32 v0, v36, v37
	s_delay_alu instid0(VALU_DEP_3) | instskip(NEXT) | instid1(VALU_DEP_2)
	v_add_f16_e32 v4, v1, v36
	v_fmamk_f16 v3, v0, 0xbaee, v7
	v_fmac_f16_e32 v7, 0x3aee, v0
	v_add_f16_e32 v0, v36, v37
	s_delay_alu instid0(VALU_DEP_1) | instskip(SKIP_1) | instid1(VALU_DEP_1)
	v_fmac_f16_e32 v1, -0.5, v0
	v_sub_f16_e32 v0, v34, v35
	v_fmamk_f16 v5, v0, 0x3aee, v1
	v_fmac_f16_e32 v1, 0xbaee, v0
	s_delay_alu instid0(VALU_DEP_1) | instskip(SKIP_3) | instid1(VALU_DEP_2)
	v_pack_b32_f16 v0, v7, v1
	v_add_f16_e32 v1, v2, v35
	v_add_f16_e32 v2, v4, v37
	;; [unrolled: 1-line block ×3, first 2 shown]
	v_pack_b32_f16 v1, v1, v2
	v_pack_b32_f16 v2, v3, v5
	scratch_load_b32 v3, off, off offset:360 th:TH_LOAD_LU ; 4-byte Folded Reload
	s_wait_loadcnt 0x0
	ds_store_2addr_b32 v3, v1, v2 offset1:10
	ds_store_b32 v3, v0 offset:80
	v_lshrrev_b32_e32 v0, 16, v8
	v_add_f16_e32 v2, v39, v41
	v_sub_f16_e32 v3, v39, v41
	v_sub_f16_e32 v5, v38, v40
	s_delay_alu instid0(VALU_DEP_4) | instskip(NEXT) | instid1(VALU_DEP_4)
	v_add_f16_e32 v1, v0, v39
	v_fmac_f16_e32 v0, -0.5, v2
	v_add_f16_e32 v2, v8, v38
	s_delay_alu instid0(VALU_DEP_3) | instskip(NEXT) | instid1(VALU_DEP_3)
	v_add_f16_e32 v1, v1, v41
	v_fmamk_f16 v6, v5, 0x3aee, v0
	s_delay_alu instid0(VALU_DEP_3) | instskip(SKIP_1) | instid1(VALU_DEP_2)
	v_add_f16_e32 v2, v2, v40
	v_fmac_f16_e32 v0, 0xbaee, v5
	v_pack_b32_f16 v1, v2, v1
	v_fma_f16 v2, -0.5, v4, v8
	v_lshrrev_b32_e32 v8, 16, v228
	s_delay_alu instid0(VALU_DEP_2) | instskip(SKIP_1) | instid1(VALU_DEP_2)
	v_fmamk_f16 v4, v3, 0xbaee, v2
	v_fmac_f16_e32 v2, 0x3aee, v3
	v_pack_b32_f16 v4, v4, v6
	scratch_load_b32 v6, off, off offset:368 th:TH_LOAD_LU ; 4-byte Folded Reload
	v_pack_b32_f16 v0, v2, v0
	v_add_f16_e32 v2, v9, v42
	s_wait_loadcnt 0x0
	ds_store_b32 v6, v0 offset:80
	v_add_f16_e32 v0, v42, v43
	ds_store_2addr_b32 v6, v1, v4 offset1:10
	v_lshrrev_b32_e32 v1, 16, v9
	v_fmac_f16_e32 v9, -0.5, v0
	v_sub_f16_e32 v0, v44, v45
	s_delay_alu instid0(VALU_DEP_3) | instskip(NEXT) | instid1(VALU_DEP_2)
	v_add_f16_e32 v4, v1, v44
	v_fmamk_f16 v3, v0, 0xbaee, v9
	v_fmac_f16_e32 v9, 0x3aee, v0
	v_add_f16_e32 v0, v44, v45
	s_delay_alu instid0(VALU_DEP_1) | instskip(SKIP_1) | instid1(VALU_DEP_1)
	v_fmac_f16_e32 v1, -0.5, v0
	v_sub_f16_e32 v0, v42, v43
	v_fmamk_f16 v5, v0, 0x3aee, v1
	v_fmac_f16_e32 v1, 0xbaee, v0
	s_delay_alu instid0(VALU_DEP_1) | instskip(SKIP_3) | instid1(VALU_DEP_2)
	v_pack_b32_f16 v0, v9, v1
	v_add_f16_e32 v1, v2, v43
	v_add_f16_e32 v2, v4, v45
	v_lshrrev_b32_e32 v4, 16, v227
	v_pack_b32_f16 v1, v1, v2
	v_pack_b32_f16 v2, v3, v5
	scratch_load_b32 v3, off, off offset:364 th:TH_LOAD_LU ; 4-byte Folded Reload
	s_wait_loadcnt 0x0
	ds_store_2addr_b32 v3, v1, v2 offset1:10
	ds_store_b32 v3, v0 offset:80
	global_wb scope:SCOPE_SE
	s_wait_dscnt 0x0
	s_barrier_signal -1
	s_barrier_wait -1
	global_inv scope:SCOPE_SE
	ds_load_2addr_b32 v[0:1], v145 offset0:42 offset1:123
	s_wait_dscnt 0x0
	v_lshrrev_b32_e32 v2, 16, v0
	v_mul_f16_e32 v3, v4, v0
	s_delay_alu instid0(VALU_DEP_2) | instskip(NEXT) | instid1(VALU_DEP_2)
	v_mul_f16_e32 v4, v4, v2
	v_fma_f16 v5, v227, v2, -v3
	ds_load_2addr_b32 v[2:3], v166 offset0:84 offset1:165
	v_fmac_f16_e64 v4, v227, v0
	v_lshrrev_b32_e32 v0, 16, v1
	s_delay_alu instid0(VALU_DEP_1) | instskip(NEXT) | instid1(VALU_DEP_1)
	v_mul_f16_e64 v10, v247, v0
	v_fmac_f16_e64 v10, v223, v1
	v_mul_f16_e64 v1, v247, v1
	s_wait_dscnt 0x0
	v_lshrrev_b32_e32 v6, 16, v2
	s_delay_alu instid0(VALU_DEP_2) | instskip(SKIP_3) | instid1(VALU_DEP_2)
	v_fma_f16 v12, v223, v0, -v1
	ds_load_2addr_b32 v[0:1], v177 offset0:76 offset1:157
	v_mul_f16_e32 v7, v8, v2
	v_mul_f16_e32 v8, v8, v6
	v_fma_f16 v6, v228, v6, -v7
	v_lshrrev_b32_e32 v7, 16, v224
	s_delay_alu instid0(VALU_DEP_3) | instskip(SKIP_1) | instid1(VALU_DEP_4)
	v_fmac_f16_e64 v8, v228, v2
	v_lshrrev_b32_e32 v2, 16, v3
	v_sub_f16_e32 v47, v5, v6
	s_delay_alu instid0(VALU_DEP_3) | instskip(NEXT) | instid1(VALU_DEP_3)
	v_sub_f16_e32 v48, v4, v8
	v_mul_f16_e32 v11, v7, v2
	v_mul_f16_e32 v7, v7, v3
	s_delay_alu instid0(VALU_DEP_2) | instskip(NEXT) | instid1(VALU_DEP_2)
	v_fmac_f16_e64 v11, v224, v3
	v_fma_f16 v13, v224, v2, -v7
	s_wait_dscnt 0x0
	v_lshrrev_b32_e32 v2, 16, v0
	v_mul_f16_e64 v3, v249, v0
	s_delay_alu instid0(VALU_DEP_2) | instskip(NEXT) | instid1(VALU_DEP_2)
	v_mul_f16_e64 v14, v249, v2
	v_fma_f16 v15, v221, v2, -v3
	ds_load_2addr_b32 v[2:3], v55 offset0:118 offset1:199
	v_fmac_f16_e64 v14, v221, v0
	v_lshrrev_b32_e32 v0, 16, v1
	s_delay_alu instid0(VALU_DEP_1) | instskip(NEXT) | instid1(VALU_DEP_1)
	v_mul_f16_e64 v18, v251, v0
	v_fmac_f16_e64 v18, v229, v1
	v_mul_f16_e64 v1, v251, v1
	s_wait_dscnt 0x0
	v_lshrrev_b32_e32 v7, 16, v2
	s_delay_alu instid0(VALU_DEP_2) | instskip(SKIP_3) | instid1(VALU_DEP_2)
	v_fma_f16 v20, v229, v0, -v1
	ds_load_2addr_b32 v[0:1], v172 offset0:110 offset1:191
	v_mul_f16_e64 v9, v248, v2
	v_mul_f16_e64 v16, v248, v7
	v_fma_f16 v17, v222, v7, -v9
	v_mul_f16_e64 v7, v250, v3
	s_delay_alu instid0(VALU_DEP_3) | instskip(SKIP_1) | instid1(VALU_DEP_1)
	v_fmac_f16_e64 v16, v222, v2
	v_lshrrev_b32_e32 v2, 16, v3
	v_mul_f16_e64 v19, v250, v2
	s_delay_alu instid0(VALU_DEP_4) | instskip(NEXT) | instid1(VALU_DEP_2)
	v_fma_f16 v21, v230, v2, -v7
	v_fmac_f16_e64 v19, v230, v3
	s_wait_dscnt 0x0
	v_lshrrev_b32_e32 v2, 16, v0
	v_mul_f16_e64 v3, v255, v0
	s_delay_alu instid0(VALU_DEP_2) | instskip(NEXT) | instid1(VALU_DEP_2)
	v_mul_f16_e64 v22, v255, v2
	v_fma_f16 v23, v225, v2, -v3
	ds_load_2addr_b32 v[2:3], v162 offset0:152 offset1:233
	v_fmac_f16_e64 v22, v225, v0
	v_lshrrev_b32_e32 v0, 16, v1
	s_delay_alu instid0(VALU_DEP_1) | instskip(NEXT) | instid1(VALU_DEP_1)
	v_mul_f16_e64 v26, v245, v0
	v_fmac_f16_e64 v26, v235, v1
	v_mul_f16_e64 v1, v245, v1
	s_wait_dscnt 0x0
	v_lshrrev_b32_e32 v7, 16, v2
	s_delay_alu instid0(VALU_DEP_2) | instskip(SKIP_3) | instid1(VALU_DEP_2)
	v_fma_f16 v28, v235, v0, -v1
	ds_load_2addr_b32 v[0:1], v144 offset0:16 offset1:97
	v_mul_f16_e64 v9, v254, v2
	v_mul_f16_e64 v24, v254, v7
	v_fma_f16 v25, v226, v7, -v9
	v_mul_f16_e64 v7, v246, v3
	s_delay_alu instid0(VALU_DEP_3) | instskip(SKIP_1) | instid1(VALU_DEP_1)
	v_fmac_f16_e64 v24, v226, v2
	v_lshrrev_b32_e32 v2, 16, v3
	v_mul_f16_e64 v27, v246, v2
	s_delay_alu instid0(VALU_DEP_4) | instskip(NEXT) | instid1(VALU_DEP_2)
	v_fma_f16 v29, v236, v2, -v7
	v_fmac_f16_e64 v27, v236, v3
	;; [unrolled: 29-line block ×3, first 2 shown]
	s_wait_dscnt 0x0
	v_lshrrev_b32_e32 v2, 16, v0
	v_mul_f16_e64 v3, v188, v0
	s_delay_alu instid0(VALU_DEP_2) | instskip(NEXT) | instid1(VALU_DEP_2)
	v_mul_f16_e64 v38, v188, v2
	v_fma_f16 v39, v116, v2, -v3
	ds_load_2addr_b32 v[2:3], v153 offset0:92 offset1:173
	v_fmac_f16_e32 v38, v116, v0
	v_lshrrev_b32_e32 v0, 16, v1
	s_delay_alu instid0(VALU_DEP_1) | instskip(NEXT) | instid1(VALU_DEP_1)
	v_mul_f16_e64 v42, v208, v0
	v_fmac_f16_e32 v42, v118, v1
	v_mul_f16_e64 v1, v208, v1
	s_wait_dscnt 0x0
	v_lshrrev_b32_e32 v7, 16, v2
	s_delay_alu instid0(VALU_DEP_2) | instskip(SKIP_3) | instid1(VALU_DEP_2)
	v_fma_f16 v44, v118, v0, -v1
	ds_load_2addr_b32 v[0:1], v171 offset1:81
	v_mul_f16_e64 v9, v190, v2
	v_mul_f16_e64 v40, v190, v7
	v_fma_f16 v41, v117, v7, -v9
	v_mul_f16_e64 v7, v214, v3
	s_delay_alu instid0(VALU_DEP_3) | instskip(SKIP_1) | instid1(VALU_DEP_1)
	v_fmac_f16_e32 v40, v117, v2
	v_lshrrev_b32_e32 v2, 16, v3
	v_mul_f16_e64 v43, v214, v2
	s_delay_alu instid0(VALU_DEP_4) | instskip(NEXT) | instid1(VALU_DEP_2)
	v_fma_f16 v45, v119, v2, -v7
	v_fmac_f16_e32 v43, v119, v3
	s_wait_dscnt 0x0
	v_lshrrev_b32_e32 v46, 16, v0
	v_add_f16_e32 v3, v5, v6
	s_delay_alu instid0(VALU_DEP_2) | instskip(NEXT) | instid1(VALU_DEP_2)
	v_add_f16_e32 v2, v46, v5
	v_fmac_f16_e32 v46, -0.5, v3
	v_add_f16_e32 v3, v0, v4
	v_add_f16_e32 v5, v4, v8
	s_delay_alu instid0(VALU_DEP_4) | instskip(NEXT) | instid1(VALU_DEP_3)
	v_add_f16_e32 v2, v2, v6
	v_add_f16_e32 v3, v3, v8
	s_delay_alu instid0(VALU_DEP_3) | instskip(NEXT) | instid1(VALU_DEP_2)
	v_fma_f16 v0, -0.5, v5, v0
	v_pack_b32_f16 v49, v3, v2
	s_delay_alu instid0(VALU_DEP_2) | instskip(SKIP_4) | instid1(VALU_DEP_4)
	v_fmamk_f16 v2, v47, 0xbaee, v0
	v_fmamk_f16 v3, v48, 0x3aee, v46
	v_fmac_f16_e32 v0, 0x3aee, v47
	v_fmac_f16_e32 v46, 0xbaee, v48
	v_add_f16_e32 v47, v1, v10
	v_pack_b32_f16 v50, v2, v3
	ds_load_2addr_b32 v[2:3], v171 offset0:162 offset1:243
	ds_load_2addr_b32 v[4:5], v150 offset0:68 offset1:149
	;; [unrolled: 1-line block ×4, first 2 shown]
	global_wb scope:SCOPE_SE
	s_wait_dscnt 0x0
	s_barrier_signal -1
	s_barrier_wait -1
	global_inv scope:SCOPE_SE
	scratch_load_b32 v51, off, off offset:292 th:TH_LOAD_LU ; 4-byte Folded Reload
	v_pack_b32_f16 v0, v0, v46
	v_lshrrev_b32_e32 v46, 16, v1
	s_wait_loadcnt 0x0
	ds_store_b32 v51, v0 offset:240
	v_add_f16_e32 v0, v10, v11
	ds_store_2addr_b32 v51, v49, v50 offset1:30
	v_fmac_f16_e32 v1, -0.5, v0
	v_sub_f16_e32 v0, v12, v13
	s_delay_alu instid0(VALU_DEP_1) | instskip(SKIP_3) | instid1(VALU_DEP_2)
	v_fmamk_f16 v48, v0, 0xbaee, v1
	v_fmac_f16_e32 v1, 0x3aee, v0
	v_add_f16_e32 v0, v12, v13
	v_add_f16_e32 v12, v46, v12
	v_fmac_f16_e32 v46, -0.5, v0
	v_sub_f16_e32 v0, v10, v11
	s_delay_alu instid0(VALU_DEP_1) | instskip(SKIP_1) | instid1(VALU_DEP_2)
	v_fmamk_f16 v10, v0, 0x3aee, v46
	v_fmac_f16_e32 v46, 0xbaee, v0
	v_pack_b32_f16 v10, v48, v10
	s_delay_alu instid0(VALU_DEP_2) | instskip(SKIP_4) | instid1(VALU_DEP_3)
	v_pack_b32_f16 v0, v1, v46
	v_add_f16_e32 v1, v47, v11
	v_add_f16_e32 v11, v12, v13
	v_add_f16_e32 v12, v14, v16
	v_sub_f16_e32 v13, v14, v16
	v_pack_b32_f16 v1, v1, v11
	scratch_load_b32 v11, off, off offset:296 th:TH_LOAD_LU ; 4-byte Folded Reload
	s_wait_loadcnt 0x0
	ds_store_2addr_b32 v11, v1, v10 offset1:30
	ds_store_b32 v11, v0 offset:240
	v_lshrrev_b32_e32 v0, 16, v2
	v_add_f16_e32 v10, v15, v17
	v_sub_f16_e32 v11, v15, v17
	s_delay_alu instid0(VALU_DEP_3) | instskip(NEXT) | instid1(VALU_DEP_3)
	v_add_f16_e32 v1, v0, v15
	v_fmac_f16_e32 v0, -0.5, v10
	v_add_f16_e32 v10, v2, v14
	v_fma_f16 v2, -0.5, v12, v2
	s_delay_alu instid0(VALU_DEP_4) | instskip(NEXT) | instid1(VALU_DEP_4)
	v_add_f16_e32 v1, v1, v17
	v_fmamk_f16 v12, v13, 0x3aee, v0
	s_delay_alu instid0(VALU_DEP_4) | instskip(SKIP_2) | instid1(VALU_DEP_3)
	v_add_f16_e32 v10, v10, v16
	v_fmac_f16_e32 v0, 0xbaee, v13
	v_lshrrev_b32_e32 v16, 16, v137
	v_pack_b32_f16 v1, v10, v1
	v_fmamk_f16 v10, v11, 0xbaee, v2
	v_fmac_f16_e32 v2, 0x3aee, v11
	s_delay_alu instid0(VALU_DEP_2)
	v_pack_b32_f16 v10, v10, v12
	scratch_load_b32 v12, off, off offset:300 th:TH_LOAD_LU ; 4-byte Folded Reload
	v_pack_b32_f16 v0, v2, v0
	v_add_f16_e32 v2, v3, v18
	s_wait_loadcnt 0x0
	ds_store_b32 v12, v0 offset:240
	v_add_f16_e32 v0, v18, v19
	ds_store_2addr_b32 v12, v1, v10 offset1:30
	v_lshrrev_b32_e32 v1, 16, v3
	v_fmac_f16_e32 v3, -0.5, v0
	v_sub_f16_e32 v0, v20, v21
	s_delay_alu instid0(VALU_DEP_3) | instskip(NEXT) | instid1(VALU_DEP_2)
	v_add_f16_e32 v11, v1, v20
	v_fmamk_f16 v10, v0, 0xbaee, v3
	v_fmac_f16_e32 v3, 0x3aee, v0
	v_add_f16_e32 v0, v20, v21
	s_delay_alu instid0(VALU_DEP_1) | instskip(SKIP_1) | instid1(VALU_DEP_1)
	v_fmac_f16_e32 v1, -0.5, v0
	v_sub_f16_e32 v0, v18, v19
	v_fmamk_f16 v12, v0, 0x3aee, v1
	v_fmac_f16_e32 v1, 0xbaee, v0
	s_delay_alu instid0(VALU_DEP_1) | instskip(SKIP_4) | instid1(VALU_DEP_2)
	v_pack_b32_f16 v0, v3, v1
	scratch_load_b32 v3, off, off offset:304 th:TH_LOAD_LU ; 4-byte Folded Reload
	v_add_f16_e32 v1, v2, v19
	v_add_f16_e32 v2, v11, v21
	v_sub_f16_e32 v11, v22, v24
	v_pack_b32_f16 v1, v1, v2
	v_pack_b32_f16 v2, v10, v12
	s_wait_loadcnt 0x0
	ds_store_2addr_b32 v3, v1, v2 offset1:30
	ds_store_b32 v3, v0 offset:240
	v_lshrrev_b32_e32 v0, 16, v4
	v_add_f16_e32 v2, v23, v25
	v_add_f16_e32 v10, v22, v24
	v_sub_f16_e32 v3, v23, v25
	s_delay_alu instid0(VALU_DEP_4) | instskip(NEXT) | instid1(VALU_DEP_4)
	v_add_f16_e32 v1, v0, v23
	v_fmac_f16_e32 v0, -0.5, v2
	v_add_f16_e32 v2, v4, v22
	s_delay_alu instid0(VALU_DEP_3) | instskip(NEXT) | instid1(VALU_DEP_2)
	v_add_f16_e32 v1, v1, v25
	v_add_f16_e32 v2, v2, v24
	v_lshrrev_b32_e32 v24, 16, v131
	s_delay_alu instid0(VALU_DEP_2) | instskip(SKIP_3) | instid1(VALU_DEP_3)
	v_pack_b32_f16 v1, v2, v1
	v_fma_f16 v2, -0.5, v10, v4
	v_fmamk_f16 v10, v11, 0x3aee, v0
	v_fmac_f16_e32 v0, 0xbaee, v11
	v_fmamk_f16 v4, v3, 0xbaee, v2
	v_fmac_f16_e32 v2, 0x3aee, v3
	s_delay_alu instid0(VALU_DEP_2)
	v_pack_b32_f16 v4, v4, v10
	scratch_load_b32 v10, off, off offset:308 th:TH_LOAD_LU ; 4-byte Folded Reload
	v_pack_b32_f16 v0, v2, v0
	v_add_f16_e32 v2, v5, v26
	s_wait_loadcnt 0x0
	ds_store_b32 v10, v0 offset:240
	v_add_f16_e32 v0, v26, v27
	ds_store_2addr_b32 v10, v1, v4 offset1:30
	v_lshrrev_b32_e32 v1, 16, v5
	v_fmac_f16_e32 v5, -0.5, v0
	v_sub_f16_e32 v0, v28, v29
	s_delay_alu instid0(VALU_DEP_3) | instskip(NEXT) | instid1(VALU_DEP_2)
	v_add_f16_e32 v4, v1, v28
	v_fmamk_f16 v3, v0, 0xbaee, v5
	v_fmac_f16_e32 v5, 0x3aee, v0
	v_add_f16_e32 v0, v28, v29
	s_delay_alu instid0(VALU_DEP_1) | instskip(SKIP_1) | instid1(VALU_DEP_1)
	v_fmac_f16_e32 v1, -0.5, v0
	v_sub_f16_e32 v0, v26, v27
	v_fmamk_f16 v10, v0, 0x3aee, v1
	v_fmac_f16_e32 v1, 0xbaee, v0
	s_delay_alu instid0(VALU_DEP_1) | instskip(SKIP_4) | instid1(VALU_DEP_3)
	v_pack_b32_f16 v0, v5, v1
	v_add_f16_e32 v1, v2, v27
	v_add_f16_e32 v2, v4, v29
	v_add_f16_e32 v4, v30, v32
	v_sub_f16_e32 v5, v30, v32
	v_pack_b32_f16 v1, v1, v2
	v_pack_b32_f16 v2, v3, v10
	scratch_load_b32 v3, off, off offset:312 th:TH_LOAD_LU ; 4-byte Folded Reload
	s_wait_loadcnt 0x0
	ds_store_2addr_b32 v3, v1, v2 offset1:30
	ds_store_b32 v3, v0 offset:240
	v_lshrrev_b32_e32 v0, 16, v6
	v_add_f16_e32 v2, v31, v33
	v_sub_f16_e32 v3, v31, v33
	s_delay_alu instid0(VALU_DEP_3) | instskip(NEXT) | instid1(VALU_DEP_3)
	v_add_f16_e32 v1, v0, v31
	v_fmac_f16_e32 v0, -0.5, v2
	v_add_f16_e32 v2, v6, v30
	s_delay_alu instid0(VALU_DEP_3) | instskip(NEXT) | instid1(VALU_DEP_2)
	v_add_f16_e32 v1, v1, v33
	v_add_f16_e32 v2, v2, v32
	v_lshrrev_b32_e32 v32, 16, v127
	s_delay_alu instid0(VALU_DEP_2) | instskip(SKIP_3) | instid1(VALU_DEP_3)
	v_pack_b32_f16 v1, v2, v1
	v_fma_f16 v2, -0.5, v4, v6
	v_fmamk_f16 v6, v5, 0x3aee, v0
	v_fmac_f16_e32 v0, 0xbaee, v5
	v_fmamk_f16 v4, v3, 0xbaee, v2
	v_fmac_f16_e32 v2, 0x3aee, v3
	s_delay_alu instid0(VALU_DEP_2)
	v_pack_b32_f16 v4, v4, v6
	scratch_load_b32 v6, off, off offset:316 th:TH_LOAD_LU ; 4-byte Folded Reload
	v_pack_b32_f16 v0, v2, v0
	v_add_f16_e32 v2, v7, v34
	s_wait_loadcnt 0x0
	ds_store_b32 v6, v0 offset:240
	v_add_f16_e32 v0, v34, v35
	ds_store_2addr_b32 v6, v1, v4 offset1:30
	v_lshrrev_b32_e32 v1, 16, v7
	v_fmac_f16_e32 v7, -0.5, v0
	v_sub_f16_e32 v0, v36, v37
	s_delay_alu instid0(VALU_DEP_3) | instskip(NEXT) | instid1(VALU_DEP_2)
	v_add_f16_e32 v4, v1, v36
	v_fmamk_f16 v3, v0, 0xbaee, v7
	v_fmac_f16_e32 v7, 0x3aee, v0
	v_add_f16_e32 v0, v36, v37
	s_delay_alu instid0(VALU_DEP_1) | instskip(SKIP_1) | instid1(VALU_DEP_1)
	v_fmac_f16_e32 v1, -0.5, v0
	v_sub_f16_e32 v0, v34, v35
	v_fmamk_f16 v5, v0, 0x3aee, v1
	v_fmac_f16_e32 v1, 0xbaee, v0
	s_delay_alu instid0(VALU_DEP_1) | instskip(SKIP_3) | instid1(VALU_DEP_2)
	v_pack_b32_f16 v0, v7, v1
	v_add_f16_e32 v1, v2, v35
	v_add_f16_e32 v2, v4, v37
	;; [unrolled: 1-line block ×3, first 2 shown]
	v_pack_b32_f16 v1, v1, v2
	v_pack_b32_f16 v2, v3, v5
	scratch_load_b32 v3, off, off offset:320 th:TH_LOAD_LU ; 4-byte Folded Reload
	s_wait_loadcnt 0x0
	ds_store_2addr_b32 v3, v1, v2 offset1:30
	ds_store_b32 v3, v0 offset:240
	v_lshrrev_b32_e32 v0, 16, v8
	v_add_f16_e32 v2, v39, v41
	v_sub_f16_e32 v3, v39, v41
	v_sub_f16_e32 v5, v38, v40
	s_delay_alu instid0(VALU_DEP_4) | instskip(NEXT) | instid1(VALU_DEP_4)
	v_add_f16_e32 v1, v0, v39
	v_fmac_f16_e32 v0, -0.5, v2
	v_add_f16_e32 v2, v8, v38
	s_delay_alu instid0(VALU_DEP_3) | instskip(NEXT) | instid1(VALU_DEP_3)
	v_add_f16_e32 v1, v1, v41
	v_fmamk_f16 v6, v5, 0x3aee, v0
	s_delay_alu instid0(VALU_DEP_3) | instskip(SKIP_2) | instid1(VALU_DEP_3)
	v_add_f16_e32 v2, v2, v40
	v_fmac_f16_e32 v0, 0xbaee, v5
	v_lshrrev_b32_e32 v40, 16, v139
	v_pack_b32_f16 v1, v2, v1
	v_fma_f16 v2, -0.5, v4, v8
	v_lshrrev_b32_e32 v8, 16, v125
	s_delay_alu instid0(VALU_DEP_2) | instskip(SKIP_1) | instid1(VALU_DEP_2)
	v_fmamk_f16 v4, v3, 0xbaee, v2
	v_fmac_f16_e32 v2, 0x3aee, v3
	v_pack_b32_f16 v4, v4, v6
	scratch_load_b32 v6, off, off offset:328 th:TH_LOAD_LU ; 4-byte Folded Reload
	v_pack_b32_f16 v0, v2, v0
	v_add_f16_e32 v2, v9, v42
	s_wait_loadcnt 0x0
	ds_store_b32 v6, v0 offset:240
	v_add_f16_e32 v0, v42, v43
	ds_store_2addr_b32 v6, v1, v4 offset1:30
	v_lshrrev_b32_e32 v1, 16, v9
	v_fmac_f16_e32 v9, -0.5, v0
	v_sub_f16_e32 v0, v44, v45
	s_delay_alu instid0(VALU_DEP_3) | instskip(NEXT) | instid1(VALU_DEP_2)
	v_add_f16_e32 v4, v1, v44
	v_fmamk_f16 v3, v0, 0xbaee, v9
	v_fmac_f16_e32 v9, 0x3aee, v0
	v_add_f16_e32 v0, v44, v45
	s_delay_alu instid0(VALU_DEP_1) | instskip(SKIP_1) | instid1(VALU_DEP_1)
	v_fmac_f16_e32 v1, -0.5, v0
	v_sub_f16_e32 v0, v42, v43
	v_fmamk_f16 v5, v0, 0x3aee, v1
	v_fmac_f16_e32 v1, 0xbaee, v0
	s_delay_alu instid0(VALU_DEP_1) | instskip(SKIP_3) | instid1(VALU_DEP_2)
	v_pack_b32_f16 v0, v9, v1
	v_add_f16_e32 v1, v2, v43
	v_add_f16_e32 v2, v4, v45
	v_lshrrev_b32_e32 v4, 16, v124
	v_pack_b32_f16 v1, v1, v2
	v_pack_b32_f16 v2, v3, v5
	scratch_load_b32 v3, off, off offset:324 th:TH_LOAD_LU ; 4-byte Folded Reload
	s_wait_loadcnt 0x0
	ds_store_2addr_b32 v3, v1, v2 offset1:30
	ds_store_b32 v3, v0 offset:240
	global_wb scope:SCOPE_SE
	s_wait_dscnt 0x0
	s_barrier_signal -1
	s_barrier_wait -1
	global_inv scope:SCOPE_SE
	ds_load_2addr_b32 v[0:1], v145 offset0:42 offset1:123
	s_wait_dscnt 0x0
	v_lshrrev_b32_e32 v2, 16, v0
	v_mul_f16_e32 v3, v4, v0
	s_delay_alu instid0(VALU_DEP_2) | instskip(NEXT) | instid1(VALU_DEP_2)
	v_mul_f16_e32 v4, v4, v2
	v_fma_f16 v5, v124, v2, -v3
	ds_load_2addr_b32 v[2:3], v166 offset0:84 offset1:165
	v_fmac_f16_e32 v4, v124, v0
	v_lshrrev_b32_e32 v0, 16, v1
	s_wait_dscnt 0x0
	v_lshrrev_b32_e32 v6, 16, v2
	v_mul_f16_e32 v7, v8, v2
	s_delay_alu instid0(VALU_DEP_2) | instskip(NEXT) | instid1(VALU_DEP_2)
	v_mul_f16_e32 v8, v8, v6
	v_fma_f16 v6, v125, v6, -v7
	v_lshrrev_b32_e32 v7, 16, v133
	s_delay_alu instid0(VALU_DEP_3) | instskip(SKIP_1) | instid1(VALU_DEP_4)
	v_fmac_f16_e32 v8, v125, v2
	v_lshrrev_b32_e32 v2, 16, v132
	v_sub_f16_e32 v47, v5, v6
	s_delay_alu instid0(VALU_DEP_3) | instskip(NEXT) | instid1(VALU_DEP_3)
	v_sub_f16_e32 v48, v4, v8
	v_mul_f16_e32 v10, v2, v0
	s_delay_alu instid0(VALU_DEP_1) | instskip(SKIP_2) | instid1(VALU_DEP_2)
	v_fmac_f16_e64 v10, v132, v1
	v_mul_f16_e32 v1, v2, v1
	v_lshrrev_b32_e32 v2, 16, v3
	v_fma_f16 v12, v132, v0, -v1
	ds_load_2addr_b32 v[0:1], v177 offset0:76 offset1:157
	v_mul_f16_e32 v11, v7, v2
	v_mul_f16_e32 v7, v7, v3
	s_delay_alu instid0(VALU_DEP_2) | instskip(NEXT) | instid1(VALU_DEP_2)
	v_fmac_f16_e64 v11, v133, v3
	v_fma_f16 v13, v133, v2, -v7
	v_lshrrev_b32_e32 v7, 16, v136
	s_wait_dscnt 0x0
	v_lshrrev_b32_e32 v2, 16, v0
	s_delay_alu instid0(VALU_DEP_2) | instskip(NEXT) | instid1(VALU_DEP_2)
	v_mul_f16_e32 v3, v7, v0
	v_mul_f16_e32 v14, v7, v2
	s_delay_alu instid0(VALU_DEP_2)
	v_fma_f16 v15, v136, v2, -v3
	ds_load_2addr_b32 v[2:3], v55 offset0:118 offset1:199
	v_fmac_f16_e64 v14, v136, v0
	v_lshrrev_b32_e32 v0, 16, v1
	s_wait_dscnt 0x0
	v_lshrrev_b32_e32 v7, 16, v2
	v_mul_f16_e32 v9, v16, v2
	s_delay_alu instid0(VALU_DEP_2) | instskip(NEXT) | instid1(VALU_DEP_2)
	v_mul_f16_e32 v16, v16, v7
	v_fma_f16 v17, v137, v7, -v9
	v_lshrrev_b32_e32 v7, 16, v129
	s_delay_alu instid0(VALU_DEP_3) | instskip(SKIP_1) | instid1(VALU_DEP_1)
	v_fmac_f16_e64 v16, v137, v2
	v_lshrrev_b32_e32 v2, 16, v128
	v_mul_f16_e32 v18, v2, v0
	s_delay_alu instid0(VALU_DEP_1) | instskip(SKIP_2) | instid1(VALU_DEP_2)
	v_fmac_f16_e64 v18, v128, v1
	v_mul_f16_e32 v1, v2, v1
	v_lshrrev_b32_e32 v2, 16, v3
	v_fma_f16 v20, v128, v0, -v1
	ds_load_2addr_b32 v[0:1], v172 offset0:110 offset1:191
	v_mul_f16_e32 v19, v7, v2
	v_mul_f16_e32 v7, v7, v3
	s_delay_alu instid0(VALU_DEP_2) | instskip(NEXT) | instid1(VALU_DEP_2)
	v_fmac_f16_e64 v19, v129, v3
	v_fma_f16 v21, v129, v2, -v7
	v_lshrrev_b32_e32 v7, 16, v130
	s_wait_dscnt 0x0
	v_lshrrev_b32_e32 v2, 16, v0
	s_delay_alu instid0(VALU_DEP_2) | instskip(NEXT) | instid1(VALU_DEP_2)
	v_mul_f16_e32 v3, v7, v0
	v_mul_f16_e32 v22, v7, v2
	s_delay_alu instid0(VALU_DEP_2)
	v_fma_f16 v23, v130, v2, -v3
	ds_load_2addr_b32 v[2:3], v162 offset0:152 offset1:233
	v_fmac_f16_e64 v22, v130, v0
	v_lshrrev_b32_e32 v0, 16, v1
	s_wait_dscnt 0x0
	v_lshrrev_b32_e32 v7, 16, v2
	v_mul_f16_e32 v9, v24, v2
	s_delay_alu instid0(VALU_DEP_2) | instskip(NEXT) | instid1(VALU_DEP_2)
	v_mul_f16_e32 v24, v24, v7
	v_fma_f16 v25, v131, v7, -v9
	v_lshrrev_b32_e32 v7, 16, v123
	s_delay_alu instid0(VALU_DEP_3) | instskip(SKIP_1) | instid1(VALU_DEP_1)
	v_fmac_f16_e64 v24, v131, v2
	v_lshrrev_b32_e32 v2, 16, v122
	v_mul_f16_e32 v26, v2, v0
	s_delay_alu instid0(VALU_DEP_1) | instskip(SKIP_2) | instid1(VALU_DEP_2)
	v_fmac_f16_e32 v26, v122, v1
	v_mul_f16_e32 v1, v2, v1
	v_lshrrev_b32_e32 v2, 16, v3
	v_fma_f16 v28, v122, v0, -v1
	ds_load_2addr_b32 v[0:1], v144 offset0:16 offset1:97
	v_mul_f16_e32 v27, v7, v2
	v_mul_f16_e32 v7, v7, v3
	s_delay_alu instid0(VALU_DEP_2) | instskip(NEXT) | instid1(VALU_DEP_2)
	v_fmac_f16_e32 v27, v123, v3
	v_fma_f16 v29, v123, v2, -v7
	v_lshrrev_b32_e32 v7, 16, v126
	s_wait_dscnt 0x0
	v_lshrrev_b32_e32 v2, 16, v0
	s_delay_alu instid0(VALU_DEP_2) | instskip(NEXT) | instid1(VALU_DEP_2)
	v_mul_f16_e32 v3, v7, v0
	v_mul_f16_e32 v30, v7, v2
	s_delay_alu instid0(VALU_DEP_2)
	v_fma_f16 v31, v126, v2, -v3
	ds_load_2addr_b32 v[2:3], v169 offset0:58 offset1:139
	v_fmac_f16_e32 v30, v126, v0
	v_lshrrev_b32_e32 v0, 16, v1
	s_wait_dscnt 0x0
	v_lshrrev_b32_e32 v7, 16, v2
	v_mul_f16_e32 v9, v32, v2
	s_delay_alu instid0(VALU_DEP_2) | instskip(NEXT) | instid1(VALU_DEP_2)
	v_mul_f16_e32 v32, v32, v7
	v_fma_f16 v33, v127, v7, -v9
	v_lshrrev_b32_e32 v7, 16, v135
	s_delay_alu instid0(VALU_DEP_3) | instskip(SKIP_1) | instid1(VALU_DEP_1)
	v_fmac_f16_e32 v32, v127, v2
	v_lshrrev_b32_e32 v2, 16, v134
	v_mul_f16_e32 v34, v2, v0
	s_delay_alu instid0(VALU_DEP_1) | instskip(SKIP_2) | instid1(VALU_DEP_2)
	v_fmac_f16_e64 v34, v134, v1
	v_mul_f16_e32 v1, v2, v1
	v_lshrrev_b32_e32 v2, 16, v3
	v_fma_f16 v36, v134, v0, -v1
	ds_load_2addr_b32 v[0:1], v167 offset0:50 offset1:131
	v_mul_f16_e32 v35, v7, v2
	v_mul_f16_e32 v7, v7, v3
	s_delay_alu instid0(VALU_DEP_2) | instskip(NEXT) | instid1(VALU_DEP_2)
	v_fmac_f16_e64 v35, v135, v3
	v_fma_f16 v37, v135, v2, -v7
	v_lshrrev_b32_e32 v7, 16, v138
	s_wait_dscnt 0x0
	v_lshrrev_b32_e32 v2, 16, v0
	s_delay_alu instid0(VALU_DEP_2) | instskip(NEXT) | instid1(VALU_DEP_2)
	v_mul_f16_e32 v3, v7, v0
	v_mul_f16_e32 v38, v7, v2
	s_delay_alu instid0(VALU_DEP_2)
	v_fma_f16 v39, v138, v2, -v3
	ds_load_2addr_b32 v[2:3], v153 offset0:92 offset1:173
	v_fmac_f16_e64 v38, v138, v0
	v_lshrrev_b32_e32 v0, 16, v1
	s_wait_dscnt 0x0
	v_lshrrev_b32_e32 v7, 16, v2
	v_mul_f16_e32 v9, v40, v2
	s_delay_alu instid0(VALU_DEP_2) | instskip(NEXT) | instid1(VALU_DEP_2)
	v_mul_f16_e32 v40, v40, v7
	v_fma_f16 v41, v139, v7, -v9
	v_lshrrev_b32_e32 v7, 16, v141
	s_delay_alu instid0(VALU_DEP_3) | instskip(SKIP_1) | instid1(VALU_DEP_1)
	v_fmac_f16_e64 v40, v139, v2
	v_lshrrev_b32_e32 v2, 16, v140
	v_mul_f16_e32 v42, v2, v0
	s_delay_alu instid0(VALU_DEP_1) | instskip(SKIP_2) | instid1(VALU_DEP_2)
	v_fmac_f16_e64 v42, v140, v1
	v_mul_f16_e32 v1, v2, v1
	v_lshrrev_b32_e32 v2, 16, v3
	v_fma_f16 v44, v140, v0, -v1
	ds_load_2addr_b32 v[0:1], v171 offset1:81
	v_mul_f16_e32 v43, v7, v2
	v_mul_f16_e32 v7, v7, v3
	s_delay_alu instid0(VALU_DEP_2) | instskip(SKIP_1) | instid1(VALU_DEP_3)
	v_fmac_f16_e64 v43, v141, v3
	v_add_f16_e32 v3, v5, v6
	v_fma_f16 v45, v141, v2, -v7
	s_wait_dscnt 0x0
	v_lshrrev_b32_e32 v46, 16, v0
	v_add_f16_e32 v51, v1, v10
	s_delay_alu instid0(VALU_DEP_2) | instskip(SKIP_3) | instid1(VALU_DEP_4)
	v_add_f16_e32 v2, v46, v5
	v_fmac_f16_e32 v46, -0.5, v3
	v_add_f16_e32 v3, v0, v4
	v_add_f16_e32 v5, v4, v8
	;; [unrolled: 1-line block ×3, first 2 shown]
	s_delay_alu instid0(VALU_DEP_3) | instskip(NEXT) | instid1(VALU_DEP_3)
	v_add_f16_e32 v3, v3, v8
	v_fma_f16 v0, -0.5, v5, v0
	s_delay_alu instid0(VALU_DEP_2) | instskip(NEXT) | instid1(VALU_DEP_2)
	v_pack_b32_f16 v49, v3, v2
	v_fmamk_f16 v2, v47, 0xbaee, v0
	v_fmamk_f16 v3, v48, 0x3aee, v46
	v_fmac_f16_e32 v0, 0x3aee, v47
	v_fmac_f16_e32 v46, 0xbaee, v48
	s_delay_alu instid0(VALU_DEP_3)
	v_pack_b32_f16 v50, v2, v3
	ds_load_2addr_b32 v[2:3], v171 offset0:162 offset1:243
	ds_load_2addr_b32 v[4:5], v150 offset0:68 offset1:149
	;; [unrolled: 1-line block ×4, first 2 shown]
	v_pack_b32_f16 v0, v0, v46
	global_wb scope:SCOPE_SE
	s_wait_dscnt 0x0
	s_barrier_signal -1
	s_barrier_wait -1
	global_inv scope:SCOPE_SE
	ds_store_b32 v171, v0 offset:720
	scratch_load_b32 v0, off, off offset:252 th:TH_LOAD_LU ; 4-byte Folded Reload
	ds_store_2addr_b32 v171, v49, v50 offset1:90
	v_add_f16_e32 v49, v10, v11
	v_lshrrev_b32_e32 v50, 16, v1
	v_sub_f16_e32 v10, v10, v11
	s_delay_alu instid0(VALU_DEP_3) | instskip(SKIP_1) | instid1(VALU_DEP_1)
	v_fmac_f16_e32 v1, -0.5, v49
	v_sub_f16_e32 v49, v12, v13
	v_fmamk_f16 v52, v49, 0xbaee, v1
	v_fmac_f16_e32 v1, 0x3aee, v49
	v_add_f16_e32 v49, v12, v13
	v_add_f16_e32 v12, v50, v12
	s_delay_alu instid0(VALU_DEP_2) | instskip(NEXT) | instid1(VALU_DEP_1)
	v_fmac_f16_e32 v50, -0.5, v49
	v_fmamk_f16 v49, v10, 0x3aee, v50
	v_fmac_f16_e32 v50, 0xbaee, v10
	v_add_f16_e32 v10, v51, v11
	v_add_f16_e32 v11, v12, v13
	;; [unrolled: 1-line block ×3, first 2 shown]
	v_sub_f16_e32 v13, v14, v16
	v_pack_b32_f16 v1, v1, v50
	s_delay_alu instid0(VALU_DEP_4)
	v_pack_b32_f16 v10, v10, v11
	v_pack_b32_f16 v11, v52, v49
	s_wait_loadcnt 0x0
	ds_store_2addr_b32 v0, v10, v11 offset1:90
	ds_store_b32 v0, v1 offset:720
	v_lshrrev_b32_e32 v0, 16, v2
	v_add_f16_e32 v10, v15, v17
	v_sub_f16_e32 v11, v15, v17
	s_delay_alu instid0(VALU_DEP_3) | instskip(NEXT) | instid1(VALU_DEP_3)
	v_add_f16_e32 v1, v0, v15
	v_fmac_f16_e32 v0, -0.5, v10
	v_add_f16_e32 v10, v2, v14
	v_fma_f16 v2, -0.5, v12, v2
	s_delay_alu instid0(VALU_DEP_4) | instskip(NEXT) | instid1(VALU_DEP_4)
	v_add_f16_e32 v1, v1, v17
	v_fmamk_f16 v12, v13, 0x3aee, v0
	s_delay_alu instid0(VALU_DEP_4) | instskip(SKIP_1) | instid1(VALU_DEP_2)
	v_add_f16_e32 v10, v10, v16
	v_fmac_f16_e32 v0, 0xbaee, v13
	v_pack_b32_f16 v1, v10, v1
	v_fmamk_f16 v10, v11, 0xbaee, v2
	v_fmac_f16_e32 v2, 0x3aee, v11
	s_delay_alu instid0(VALU_DEP_2)
	v_pack_b32_f16 v10, v10, v12
	scratch_load_b32 v12, off, off offset:256 th:TH_LOAD_LU ; 4-byte Folded Reload
	v_pack_b32_f16 v0, v2, v0
	v_add_f16_e32 v2, v3, v18
	s_wait_loadcnt 0x0
	ds_store_b32 v12, v0 offset:720
	v_add_f16_e32 v0, v18, v19
	ds_store_2addr_b32 v12, v1, v10 offset1:90
	v_lshrrev_b32_e32 v1, 16, v3
	v_fmac_f16_e32 v3, -0.5, v0
	v_sub_f16_e32 v0, v20, v21
	s_delay_alu instid0(VALU_DEP_3) | instskip(NEXT) | instid1(VALU_DEP_2)
	v_add_f16_e32 v11, v1, v20
	v_fmamk_f16 v10, v0, 0xbaee, v3
	v_fmac_f16_e32 v3, 0x3aee, v0
	v_add_f16_e32 v0, v20, v21
	s_delay_alu instid0(VALU_DEP_1) | instskip(SKIP_1) | instid1(VALU_DEP_1)
	v_fmac_f16_e32 v1, -0.5, v0
	v_sub_f16_e32 v0, v18, v19
	v_fmamk_f16 v12, v0, 0x3aee, v1
	v_fmac_f16_e32 v1, 0xbaee, v0
	s_delay_alu instid0(VALU_DEP_1) | instskip(SKIP_4) | instid1(VALU_DEP_2)
	v_pack_b32_f16 v0, v3, v1
	scratch_load_b32 v3, off, off offset:260 th:TH_LOAD_LU ; 4-byte Folded Reload
	v_add_f16_e32 v1, v2, v19
	v_add_f16_e32 v2, v11, v21
	v_sub_f16_e32 v11, v22, v24
	v_pack_b32_f16 v1, v1, v2
	v_pack_b32_f16 v2, v10, v12
	s_wait_loadcnt 0x0
	ds_store_2addr_b32 v3, v1, v2 offset1:90
	ds_store_b32 v3, v0 offset:720
	v_lshrrev_b32_e32 v0, 16, v4
	v_add_f16_e32 v2, v23, v25
	v_add_f16_e32 v10, v22, v24
	v_sub_f16_e32 v3, v23, v25
	s_delay_alu instid0(VALU_DEP_4) | instskip(NEXT) | instid1(VALU_DEP_4)
	v_add_f16_e32 v1, v0, v23
	v_fmac_f16_e32 v0, -0.5, v2
	v_add_f16_e32 v2, v4, v22
	s_delay_alu instid0(VALU_DEP_3) | instskip(NEXT) | instid1(VALU_DEP_2)
	v_add_f16_e32 v1, v1, v25
	v_add_f16_e32 v2, v2, v24
	s_delay_alu instid0(VALU_DEP_1) | instskip(SKIP_3) | instid1(VALU_DEP_3)
	v_pack_b32_f16 v1, v2, v1
	v_fma_f16 v2, -0.5, v10, v4
	v_fmamk_f16 v10, v11, 0x3aee, v0
	v_fmac_f16_e32 v0, 0xbaee, v11
	v_fmamk_f16 v4, v3, 0xbaee, v2
	v_fmac_f16_e32 v2, 0x3aee, v3
	s_delay_alu instid0(VALU_DEP_2)
	v_pack_b32_f16 v4, v4, v10
	scratch_load_b32 v10, off, off offset:264 th:TH_LOAD_LU ; 4-byte Folded Reload
	v_pack_b32_f16 v0, v2, v0
	v_add_f16_e32 v2, v5, v26
	s_wait_loadcnt 0x0
	ds_store_b32 v10, v0 offset:720
	v_add_f16_e32 v0, v26, v27
	ds_store_2addr_b32 v10, v1, v4 offset1:90
	v_lshrrev_b32_e32 v1, 16, v5
	v_fmac_f16_e32 v5, -0.5, v0
	v_sub_f16_e32 v0, v28, v29
	s_delay_alu instid0(VALU_DEP_3) | instskip(NEXT) | instid1(VALU_DEP_2)
	v_add_f16_e32 v4, v1, v28
	v_fmamk_f16 v3, v0, 0xbaee, v5
	v_fmac_f16_e32 v5, 0x3aee, v0
	v_add_f16_e32 v0, v28, v29
	s_delay_alu instid0(VALU_DEP_1) | instskip(SKIP_1) | instid1(VALU_DEP_1)
	v_fmac_f16_e32 v1, -0.5, v0
	v_sub_f16_e32 v0, v26, v27
	v_fmamk_f16 v10, v0, 0x3aee, v1
	v_fmac_f16_e32 v1, 0xbaee, v0
	s_delay_alu instid0(VALU_DEP_1) | instskip(SKIP_4) | instid1(VALU_DEP_3)
	v_pack_b32_f16 v0, v5, v1
	v_add_f16_e32 v1, v2, v27
	v_add_f16_e32 v2, v4, v29
	;; [unrolled: 1-line block ×3, first 2 shown]
	v_sub_f16_e32 v5, v30, v32
	v_pack_b32_f16 v1, v1, v2
	v_pack_b32_f16 v2, v3, v10
	scratch_load_b32 v3, off, off offset:268 th:TH_LOAD_LU ; 4-byte Folded Reload
	s_wait_loadcnt 0x0
	ds_store_2addr_b32 v3, v1, v2 offset1:90
	ds_store_b32 v3, v0 offset:720
	v_lshrrev_b32_e32 v0, 16, v6
	v_add_f16_e32 v2, v31, v33
	v_sub_f16_e32 v3, v31, v33
	s_delay_alu instid0(VALU_DEP_3) | instskip(NEXT) | instid1(VALU_DEP_3)
	v_add_f16_e32 v1, v0, v31
	v_fmac_f16_e32 v0, -0.5, v2
	v_add_f16_e32 v2, v6, v30
	s_delay_alu instid0(VALU_DEP_3) | instskip(NEXT) | instid1(VALU_DEP_2)
	v_add_f16_e32 v1, v1, v33
	v_add_f16_e32 v2, v2, v32
	s_delay_alu instid0(VALU_DEP_1) | instskip(SKIP_3) | instid1(VALU_DEP_3)
	v_pack_b32_f16 v1, v2, v1
	v_fma_f16 v2, -0.5, v4, v6
	v_fmamk_f16 v6, v5, 0x3aee, v0
	v_fmac_f16_e32 v0, 0xbaee, v5
	v_fmamk_f16 v4, v3, 0xbaee, v2
	v_fmac_f16_e32 v2, 0x3aee, v3
	s_delay_alu instid0(VALU_DEP_2)
	v_pack_b32_f16 v4, v4, v6
	scratch_load_b32 v6, off, off offset:272 th:TH_LOAD_LU ; 4-byte Folded Reload
	v_pack_b32_f16 v0, v2, v0
	v_add_f16_e32 v2, v7, v34
	s_wait_loadcnt 0x0
	ds_store_b32 v6, v0 offset:720
	v_add_f16_e32 v0, v34, v35
	ds_store_2addr_b32 v6, v1, v4 offset1:90
	v_lshrrev_b32_e32 v1, 16, v7
	v_fmac_f16_e32 v7, -0.5, v0
	v_sub_f16_e32 v0, v36, v37
	s_delay_alu instid0(VALU_DEP_3) | instskip(NEXT) | instid1(VALU_DEP_2)
	v_add_f16_e32 v4, v1, v36
	v_fmamk_f16 v3, v0, 0xbaee, v7
	v_fmac_f16_e32 v7, 0x3aee, v0
	v_add_f16_e32 v0, v36, v37
	s_delay_alu instid0(VALU_DEP_1) | instskip(SKIP_1) | instid1(VALU_DEP_1)
	v_fmac_f16_e32 v1, -0.5, v0
	v_sub_f16_e32 v0, v34, v35
	v_fmamk_f16 v5, v0, 0x3aee, v1
	v_fmac_f16_e32 v1, 0xbaee, v0
	s_delay_alu instid0(VALU_DEP_1) | instskip(SKIP_3) | instid1(VALU_DEP_2)
	v_pack_b32_f16 v0, v7, v1
	v_add_f16_e32 v1, v2, v35
	v_add_f16_e32 v2, v4, v37
	;; [unrolled: 1-line block ×3, first 2 shown]
	v_pack_b32_f16 v1, v1, v2
	v_pack_b32_f16 v2, v3, v5
	scratch_load_b32 v3, off, off offset:276 th:TH_LOAD_LU ; 4-byte Folded Reload
	s_wait_loadcnt 0x0
	ds_store_2addr_b32 v3, v1, v2 offset1:90
	ds_store_b32 v3, v0 offset:720
	v_lshrrev_b32_e32 v0, 16, v8
	v_add_f16_e32 v2, v39, v41
	v_sub_f16_e32 v3, v39, v41
	v_sub_f16_e32 v5, v38, v40
	s_delay_alu instid0(VALU_DEP_4) | instskip(NEXT) | instid1(VALU_DEP_4)
	v_add_f16_e32 v1, v0, v39
	v_fmac_f16_e32 v0, -0.5, v2
	v_add_f16_e32 v2, v8, v38
	s_delay_alu instid0(VALU_DEP_3) | instskip(NEXT) | instid1(VALU_DEP_3)
	v_add_f16_e32 v1, v1, v41
	v_fmamk_f16 v6, v5, 0x3aee, v0
	s_delay_alu instid0(VALU_DEP_3) | instskip(SKIP_1) | instid1(VALU_DEP_2)
	v_add_f16_e32 v2, v2, v40
	v_fmac_f16_e32 v0, 0xbaee, v5
	v_pack_b32_f16 v1, v2, v1
	v_fma_f16 v2, -0.5, v4, v8
	v_lshrrev_b32_e32 v8, 16, v143
	s_delay_alu instid0(VALU_DEP_2) | instskip(SKIP_2) | instid1(VALU_DEP_3)
	v_fmamk_f16 v4, v3, 0xbaee, v2
	v_fmac_f16_e32 v2, 0x3aee, v3
	v_add_f16_e32 v3, v44, v45
	v_pack_b32_f16 v4, v4, v6
	scratch_load_b32 v6, off, off offset:288 th:TH_LOAD_LU ; 4-byte Folded Reload
	v_pack_b32_f16 v0, v2, v0
	v_add_f16_e32 v2, v9, v42
	s_delay_alu instid0(VALU_DEP_1)
	v_add_f16_e32 v2, v2, v43
	s_wait_loadcnt 0x0
	ds_store_2addr_b32 v6, v1, v4 offset1:90
	ds_store_b32 v6, v0 offset:720
	v_add_f16_e32 v0, v42, v43
	v_lshrrev_b32_e32 v1, 16, v9
	v_sub_f16_e32 v4, v44, v45
	s_delay_alu instid0(VALU_DEP_3) | instskip(NEXT) | instid1(VALU_DEP_3)
	v_fmac_f16_e32 v9, -0.5, v0
	v_add_f16_e32 v0, v1, v44
	v_fmac_f16_e32 v1, -0.5, v3
	v_sub_f16_e32 v3, v42, v43
	s_delay_alu instid0(VALU_DEP_3) | instskip(NEXT) | instid1(VALU_DEP_2)
	v_add_f16_e32 v0, v0, v45
	v_fmamk_f16 v5, v3, 0x3aee, v1
	v_fmac_f16_e32 v1, 0xbaee, v3
	s_delay_alu instid0(VALU_DEP_3) | instskip(SKIP_3) | instid1(VALU_DEP_3)
	v_pack_b32_f16 v0, v2, v0
	v_fmamk_f16 v2, v4, 0xbaee, v9
	v_fmac_f16_e32 v9, 0x3aee, v4
	v_lshrrev_b32_e32 v4, 16, v142
	v_pack_b32_f16 v2, v2, v5
	scratch_load_b32 v5, off, off offset:280 th:TH_LOAD_LU ; 4-byte Folded Reload
	s_wait_loadcnt 0x0
	ds_store_2addr_b32 v5, v0, v2 offset0:112 offset1:202
	v_pack_b32_f16 v0, v9, v1
	scratch_load_b32 v1, off, off offset:284 th:TH_LOAD_LU ; 4-byte Folded Reload
	s_wait_loadcnt 0x0
	ds_store_b32 v1, v0 offset:9360
	global_wb scope:SCOPE_SE
	s_wait_dscnt 0x0
	s_barrier_signal -1
	s_barrier_wait -1
	global_inv scope:SCOPE_SE
	ds_load_2addr_b32 v[0:1], v145 offset0:42 offset1:123
	s_wait_dscnt 0x0
	v_lshrrev_b32_e32 v2, 16, v0
	v_mul_f16_e32 v3, v4, v0
	s_delay_alu instid0(VALU_DEP_2) | instskip(NEXT) | instid1(VALU_DEP_2)
	v_mul_f16_e32 v4, v4, v2
	v_fma_f16 v5, v142, v2, -v3
	ds_load_2addr_b32 v[2:3], v166 offset0:84 offset1:165
	v_fmac_f16_e64 v4, v142, v0
	v_lshrrev_b32_e32 v0, 16, v1
	s_wait_dscnt 0x0
	v_lshrrev_b32_e32 v6, 16, v2
	v_mul_f16_e32 v7, v8, v2
	s_delay_alu instid0(VALU_DEP_2) | instskip(NEXT) | instid1(VALU_DEP_2)
	v_mul_f16_e32 v8, v8, v6
	v_fma_f16 v6, v143, v6, -v7
	v_lshrrev_b32_e32 v7, 16, v57
	s_delay_alu instid0(VALU_DEP_3) | instskip(SKIP_1) | instid1(VALU_DEP_1)
	v_fmac_f16_e64 v8, v143, v2
	v_lshrrev_b32_e32 v2, 16, v56
	v_mul_f16_e32 v10, v2, v0
	s_delay_alu instid0(VALU_DEP_1) | instskip(SKIP_2) | instid1(VALU_DEP_2)
	v_fmac_f16_e32 v10, v56, v1
	v_mul_f16_e32 v1, v2, v1
	v_lshrrev_b32_e32 v2, 16, v3
	v_fma_f16 v12, v56, v0, -v1
	ds_load_2addr_b32 v[0:1], v177 offset0:76 offset1:157
	v_mul_f16_e32 v11, v7, v2
	v_mul_f16_e32 v7, v7, v3
	s_delay_alu instid0(VALU_DEP_2) | instskip(NEXT) | instid1(VALU_DEP_2)
	v_fmac_f16_e32 v11, v57, v3
	v_fma_f16 v13, v57, v2, -v7
	s_wait_dscnt 0x0
	v_lshrrev_b32_e32 v2, 16, v0
	v_mul_f16_e64 v3, v243, v0
	s_delay_alu instid0(VALU_DEP_2) | instskip(NEXT) | instid1(VALU_DEP_2)
	v_mul_f16_e64 v14, v243, v2
	v_fma_f16 v15, v76, v2, -v3
	ds_load_2addr_b32 v[2:3], v55 offset0:118 offset1:199
	v_fmac_f16_e32 v14, v76, v0
	v_lshrrev_b32_e32 v0, 16, v1
	s_delay_alu instid0(VALU_DEP_1) | instskip(NEXT) | instid1(VALU_DEP_1)
	v_mul_f16_e64 v18, v213, v0
	v_fmac_f16_e32 v18, v68, v1
	v_mul_f16_e64 v1, v213, v1
	s_wait_dscnt 0x0
	v_lshrrev_b32_e32 v7, 16, v2
	s_delay_alu instid0(VALU_DEP_2) | instskip(SKIP_3) | instid1(VALU_DEP_2)
	v_fma_f16 v20, v68, v0, -v1
	ds_load_2addr_b32 v[0:1], v172 offset0:110 offset1:191
	v_mul_f16_e64 v9, v244, v2
	v_mul_f16_e64 v16, v244, v7
	v_fma_f16 v17, v77, v7, -v9
	v_mul_f16_e64 v7, v233, v3
	s_delay_alu instid0(VALU_DEP_3) | instskip(SKIP_1) | instid1(VALU_DEP_1)
	v_fmac_f16_e32 v16, v77, v2
	v_lshrrev_b32_e32 v2, 16, v3
	v_mul_f16_e64 v19, v233, v2
	s_delay_alu instid0(VALU_DEP_4) | instskip(NEXT) | instid1(VALU_DEP_2)
	v_fma_f16 v21, v69, v2, -v7
	v_fmac_f16_e32 v19, v69, v3
	s_wait_dscnt 0x0
	v_lshrrev_b32_e32 v2, 16, v0
	v_mul_f16_e64 v3, v194, v0
	s_delay_alu instid0(VALU_DEP_2) | instskip(NEXT) | instid1(VALU_DEP_2)
	v_mul_f16_e64 v22, v194, v2
	v_fma_f16 v23, v237, v2, -v3
	ds_load_2addr_b32 v[2:3], v162 offset0:152 offset1:233
	v_fmac_f16_e64 v22, v237, v0
	v_lshrrev_b32_e32 v0, 16, v1
	s_delay_alu instid0(VALU_DEP_1) | instskip(NEXT) | instid1(VALU_DEP_1)
	v_mul_f16_e64 v26, v207, v0
	v_fmac_f16_e64 v26, v240, v1
	v_mul_f16_e64 v1, v207, v1
	s_wait_dscnt 0x0
	v_lshrrev_b32_e32 v7, 16, v2
	s_delay_alu instid0(VALU_DEP_2) | instskip(SKIP_3) | instid1(VALU_DEP_2)
	v_fma_f16 v28, v240, v0, -v1
	ds_load_2addr_b32 v[0:1], v144 offset0:16 offset1:97
	v_mul_f16_e64 v9, v192, v2
	v_mul_f16_e64 v24, v192, v7
	v_fma_f16 v25, v238, v7, -v9
	v_mul_f16_e64 v7, v203, v3
	s_delay_alu instid0(VALU_DEP_3) | instskip(SKIP_1) | instid1(VALU_DEP_1)
	v_fmac_f16_e64 v24, v238, v2
	v_lshrrev_b32_e32 v2, 16, v3
	v_mul_f16_e64 v27, v203, v2
	s_delay_alu instid0(VALU_DEP_4) | instskip(NEXT) | instid1(VALU_DEP_2)
	v_fma_f16 v29, v241, v2, -v7
	v_fmac_f16_e64 v27, v241, v3
	s_wait_dscnt 0x0
	v_lshrrev_b32_e32 v2, 16, v0
	v_mul_f16_e64 v3, v200, v0
	s_delay_alu instid0(VALU_DEP_2) | instskip(NEXT) | instid1(VALU_DEP_2)
	v_mul_f16_e64 v30, v200, v2
	v_fma_f16 v31, v180, v2, -v3
	ds_load_2addr_b32 v[2:3], v169 offset0:58 offset1:139
	v_fmac_f16_e64 v30, v180, v0
	v_lshrrev_b32_e32 v0, 16, v1
	s_delay_alu instid0(VALU_DEP_1) | instskip(NEXT) | instid1(VALU_DEP_1)
	v_mul_f16_e64 v34, v175, v0
	v_fmac_f16_e64 v34, v155, v1
	v_mul_f16_e64 v1, v175, v1
	s_wait_dscnt 0x0
	v_lshrrev_b32_e32 v7, 16, v2
	s_delay_alu instid0(VALU_DEP_2) | instskip(SKIP_3) | instid1(VALU_DEP_2)
	v_fma_f16 v36, v155, v0, -v1
	ds_load_2addr_b32 v[0:1], v167 offset0:50 offset1:131
	v_mul_f16_e64 v9, v198, v2
	v_mul_f16_e64 v32, v198, v7
	v_fma_f16 v33, v181, v7, -v9
	v_mul_f16_e64 v7, v202, v3
	s_delay_alu instid0(VALU_DEP_3) | instskip(SKIP_1) | instid1(VALU_DEP_1)
	v_fmac_f16_e64 v32, v181, v2
	v_lshrrev_b32_e32 v2, 16, v3
	v_mul_f16_e64 v35, v202, v2
	s_delay_alu instid0(VALU_DEP_4) | instskip(NEXT) | instid1(VALU_DEP_2)
	v_fma_f16 v37, v156, v2, -v7
	v_fmac_f16_e64 v35, v156, v3
	s_wait_dscnt 0x0
	v_lshrrev_b32_e32 v2, 16, v0
	v_mul_f16_e64 v3, v173, v0
	s_delay_alu instid0(VALU_DEP_2) | instskip(NEXT) | instid1(VALU_DEP_2)
	v_mul_f16_e64 v38, v173, v2
	v_fma_f16 v39, v217, v2, -v3
	ds_load_2addr_b32 v[2:3], v153 offset0:92 offset1:173
	v_fmac_f16_e64 v38, v217, v0
	v_lshrrev_b32_e32 v0, 16, v1
	s_delay_alu instid0(VALU_DEP_1) | instskip(NEXT) | instid1(VALU_DEP_1)
	v_mul_f16_e64 v42, v186, v0
	v_fmac_f16_e64 v42, v211, v1
	v_mul_f16_e64 v1, v186, v1
	s_wait_dscnt 0x0
	v_lshrrev_b32_e32 v7, 16, v2
	s_delay_alu instid0(VALU_DEP_2) | instskip(SKIP_3) | instid1(VALU_DEP_2)
	v_fma_f16 v44, v211, v0, -v1
	ds_load_2addr_b32 v[0:1], v171 offset1:81
	v_mul_f16_e64 v9, v204, v2
	v_mul_f16_e64 v40, v204, v7
	v_fma_f16 v41, v218, v7, -v9
	v_mul_f16_e64 v7, v184, v3
	s_delay_alu instid0(VALU_DEP_3) | instskip(SKIP_2) | instid1(VALU_DEP_2)
	v_fmac_f16_e64 v40, v218, v2
	v_lshrrev_b32_e32 v2, 16, v3
	v_add_f16_e32 v9, v4, v8
	v_mul_f16_e64 v43, v184, v2
	v_fma_f16 v45, v212, v2, -v7
	s_delay_alu instid0(VALU_DEP_2) | instskip(SKIP_4) | instid1(VALU_DEP_3)
	v_fmac_f16_e64 v43, v212, v3
	s_wait_dscnt 0x0
	v_lshrrev_b32_e32 v2, 16, v0
	v_add_f16_e32 v3, v5, v6
	v_lshrrev_b32_e32 v48, 16, v1
	v_add_f16_e32 v7, v2, v5
	s_delay_alu instid0(VALU_DEP_3) | instskip(SKIP_4) | instid1(VALU_DEP_4)
	v_fmac_f16_e32 v2, -0.5, v3
	v_add_f16_e32 v3, v0, v4
	v_sub_f16_e32 v4, v4, v8
	v_fma_f16 v0, -0.5, v9, v0
	v_sub_f16_e32 v5, v5, v6
	v_add_f16_e32 v3, v3, v8
	s_delay_alu instid0(VALU_DEP_2) | instskip(SKIP_4) | instid1(VALU_DEP_3)
	v_fmamk_f16 v8, v5, 0xbaee, v0
	v_fmac_f16_e32 v0, 0x3aee, v5
	v_add_f16_e32 v5, v7, v6
	v_fmamk_f16 v6, v4, 0x3aee, v2
	v_fmac_f16_e32 v2, 0xbaee, v4
	v_pack_b32_f16 v46, v3, v5
	v_add_f16_e32 v3, v48, v12
	s_delay_alu instid0(VALU_DEP_3) | instskip(SKIP_2) | instid1(VALU_DEP_4)
	v_pack_b32_f16 v0, v0, v2
	v_add_f16_e32 v2, v1, v10
	v_pack_b32_f16 v47, v8, v6
	v_add_f16_e32 v3, v3, v13
	s_delay_alu instid0(VALU_DEP_3) | instskip(NEXT) | instid1(VALU_DEP_1)
	v_add_f16_e32 v2, v2, v11
	v_pack_b32_f16 v49, v2, v3
	ds_load_2addr_b32 v[2:3], v171 offset0:162 offset1:243
	ds_load_2addr_b32 v[4:5], v150 offset0:68 offset1:149
	;; [unrolled: 1-line block ×4, first 2 shown]
	global_wb scope:SCOPE_SE
	s_wait_dscnt 0x0
	s_barrier_signal -1
	s_barrier_wait -1
	global_inv scope:SCOPE_SE
	ds_store_b32 v171, v47 offset:1080
	ds_store_b32 v171, v0 offset:2160
	ds_store_2addr_b32 v171, v46, v49 offset1:81
	v_add_f16_e32 v0, v10, v11
	s_delay_alu instid0(VALU_DEP_1) | instskip(SKIP_3) | instid1(VALU_DEP_3)
	v_fmac_f16_e32 v1, -0.5, v0
	v_add_f16_e32 v0, v12, v13
	v_sub_f16_e32 v12, v12, v13
	v_add_f16_e32 v13, v15, v17
	v_fmac_f16_e32 v48, -0.5, v0
	v_sub_f16_e32 v0, v10, v11
	s_delay_alu instid0(VALU_DEP_4) | instskip(SKIP_1) | instid1(VALU_DEP_3)
	v_fmamk_f16 v10, v12, 0xbaee, v1
	v_fmac_f16_e32 v1, 0x3aee, v12
	v_fmamk_f16 v11, v0, 0x3aee, v48
	v_fmac_f16_e32 v48, 0xbaee, v0
	s_delay_alu instid0(VALU_DEP_2) | instskip(NEXT) | instid1(VALU_DEP_2)
	v_pack_b32_f16 v10, v10, v11
	v_pack_b32_f16 v0, v1, v48
	v_lshrrev_b32_e32 v1, 16, v2
	s_delay_alu instid0(VALU_DEP_1) | instskip(SKIP_3) | instid1(VALU_DEP_4)
	v_add_f16_e32 v12, v1, v15
	v_sub_f16_e32 v15, v15, v17
	v_fmac_f16_e32 v1, -0.5, v13
	v_add_f16_e32 v13, v2, v14
	v_add_f16_e32 v12, v12, v17
	;; [unrolled: 1-line block ×3, first 2 shown]
	v_sub_f16_e32 v14, v14, v16
	s_delay_alu instid0(VALU_DEP_4) | instskip(NEXT) | instid1(VALU_DEP_3)
	v_add_f16_e32 v13, v13, v16
	v_fma_f16 v2, -0.5, v17, v2
	s_delay_alu instid0(VALU_DEP_2) | instskip(NEXT) | instid1(VALU_DEP_4)
	v_pack_b32_f16 v11, v13, v12
	v_fmamk_f16 v13, v14, 0x3aee, v1
	v_fmac_f16_e32 v1, 0xbaee, v14
	s_delay_alu instid0(VALU_DEP_4) | instskip(SKIP_1) | instid1(VALU_DEP_2)
	v_fmamk_f16 v12, v15, 0xbaee, v2
	v_fmac_f16_e32 v2, 0x3aee, v15
	v_pack_b32_f16 v12, v12, v13
	s_delay_alu instid0(VALU_DEP_2)
	v_pack_b32_f16 v1, v2, v1
	ds_store_b32 v171, v11 offset:648
	ds_store_2addr_b32 v150, v10, v12 offset0:95 offset1:176
	v_add_f16_e32 v2, v3, v18
	ds_store_2addr_b32 v176, v0, v1 offset0:109 offset1:190
	v_add_f16_e32 v0, v18, v19
	v_lshrrev_b32_e32 v1, 16, v3
	s_delay_alu instid0(VALU_DEP_2) | instskip(SKIP_1) | instid1(VALU_DEP_3)
	v_fmac_f16_e32 v3, -0.5, v0
	v_sub_f16_e32 v0, v20, v21
	v_add_f16_e32 v11, v1, v20
	s_delay_alu instid0(VALU_DEP_2) | instskip(SKIP_2) | instid1(VALU_DEP_1)
	v_fmamk_f16 v10, v0, 0xbaee, v3
	v_fmac_f16_e32 v3, 0x3aee, v0
	v_add_f16_e32 v0, v20, v21
	v_fmac_f16_e32 v1, -0.5, v0
	v_sub_f16_e32 v0, v18, v19
	s_delay_alu instid0(VALU_DEP_1) | instskip(SKIP_1) | instid1(VALU_DEP_1)
	v_fmamk_f16 v12, v0, 0x3aee, v1
	v_fmac_f16_e32 v1, 0xbaee, v0
	v_pack_b32_f16 v0, v3, v1
	v_add_f16_e32 v1, v2, v19
	v_add_f16_e32 v2, v11, v21
	v_lshrrev_b32_e32 v3, 16, v5
	v_add_f16_e32 v11, v26, v27
	s_delay_alu instid0(VALU_DEP_3)
	v_pack_b32_f16 v1, v1, v2
	v_pack_b32_f16 v2, v10, v12
	ds_store_b32 v201, v1
	ds_store_b32 v201, v2 offset:1080
	ds_store_b32 v201, v0 offset:2160
	v_lshrrev_b32_e32 v1, 16, v4
	v_add_f16_e32 v0, v4, v22
	v_add_f16_e32 v10, v3, v28
	v_sub_f16_e32 v12, v28, v29
	s_delay_alu instid0(VALU_DEP_4) | instskip(NEXT) | instid1(VALU_DEP_4)
	v_add_f16_e32 v2, v1, v23
	v_add_f16_e32 v0, v0, v24
	s_delay_alu instid0(VALU_DEP_4) | instskip(NEXT) | instid1(VALU_DEP_3)
	v_add_f16_e32 v10, v10, v29
	v_add_f16_e32 v2, v2, v25
	s_delay_alu instid0(VALU_DEP_1) | instskip(SKIP_3) | instid1(VALU_DEP_3)
	v_pack_b32_f16 v0, v0, v2
	v_add_f16_e32 v2, v5, v26
	v_fmac_f16_e32 v5, -0.5, v11
	v_add_f16_e32 v11, v28, v29
	v_add_f16_e32 v2, v2, v27
	s_delay_alu instid0(VALU_DEP_2) | instskip(SKIP_1) | instid1(VALU_DEP_3)
	v_fmac_f16_e32 v3, -0.5, v11
	v_sub_f16_e32 v11, v26, v27
	v_pack_b32_f16 v2, v2, v10
	v_sub_f16_e32 v10, v22, v24
	s_delay_alu instid0(VALU_DEP_3) | instskip(SKIP_4) | instid1(VALU_DEP_2)
	v_fmamk_f16 v14, v11, 0x3aee, v3
	v_fmac_f16_e32 v3, 0xbaee, v11
	ds_store_2addr_b32 v145, v0, v2 offset0:96 offset1:177
	v_add_f16_e32 v0, v23, v25
	v_sub_f16_e32 v2, v23, v25
	v_fmac_f16_e32 v1, -0.5, v0
	v_add_f16_e32 v0, v22, v24
	s_delay_alu instid0(VALU_DEP_2) | instskip(NEXT) | instid1(VALU_DEP_2)
	v_fmamk_f16 v13, v10, 0x3aee, v1
	v_fma_f16 v0, -0.5, v0, v4
	v_fmac_f16_e32 v1, 0xbaee, v10
	v_add_f16_e32 v10, v31, v33
	s_delay_alu instid0(VALU_DEP_3) | instskip(SKIP_2) | instid1(VALU_DEP_3)
	v_fmamk_f16 v4, v2, 0xbaee, v0
	v_fmac_f16_e32 v0, 0x3aee, v2
	v_add_f16_e32 v2, v7, v34
	v_pack_b32_f16 v4, v4, v13
	v_fmamk_f16 v13, v12, 0xbaee, v5
	v_fmac_f16_e32 v5, 0x3aee, v12
	v_pack_b32_f16 v0, v0, v1
	v_lshrrev_b32_e32 v1, 16, v7
	v_sub_f16_e32 v12, v31, v33
	v_pack_b32_f16 v13, v13, v14
	v_pack_b32_f16 v3, v5, v3
	ds_store_2addr_b32 v172, v4, v13 offset0:110 offset1:191
	ds_store_2addr_b32 v144, v0, v3 offset0:124 offset1:205
	v_add_f16_e32 v0, v34, v35
	v_add_f16_e32 v4, v1, v36
	s_delay_alu instid0(VALU_DEP_2) | instskip(SKIP_1) | instid1(VALU_DEP_1)
	v_fmac_f16_e32 v7, -0.5, v0
	v_sub_f16_e32 v0, v36, v37
	v_fmamk_f16 v3, v0, 0xbaee, v7
	v_fmac_f16_e32 v7, 0x3aee, v0
	v_add_f16_e32 v0, v36, v37
	s_delay_alu instid0(VALU_DEP_1) | instskip(SKIP_1) | instid1(VALU_DEP_1)
	v_fmac_f16_e32 v1, -0.5, v0
	v_sub_f16_e32 v0, v34, v35
	v_fmamk_f16 v5, v0, 0x3aee, v1
	v_fmac_f16_e32 v1, 0xbaee, v0
	v_add_f16_e32 v0, v30, v32
	s_delay_alu instid0(VALU_DEP_2) | instskip(SKIP_1) | instid1(VALU_DEP_3)
	v_pack_b32_f16 v1, v7, v1
	v_lshrrev_b32_e32 v7, 16, v6
	v_fma_f16 v0, -0.5, v0, v6
	v_add_f16_e32 v6, v6, v30
	s_delay_alu instid0(VALU_DEP_3) | instskip(SKIP_2) | instid1(VALU_DEP_4)
	v_add_f16_e32 v11, v7, v31
	v_fmac_f16_e32 v7, -0.5, v10
	v_sub_f16_e32 v10, v30, v32
	v_add_f16_e32 v6, v6, v32
	v_fmamk_f16 v13, v12, 0xbaee, v0
	v_add_f16_e32 v11, v11, v33
	v_fmac_f16_e32 v0, 0x3aee, v12
	v_fmamk_f16 v12, v10, 0x3aee, v7
	v_fmac_f16_e32 v7, 0xbaee, v10
	s_delay_alu instid0(VALU_DEP_4) | instskip(NEXT) | instid1(VALU_DEP_3)
	v_pack_b32_f16 v6, v6, v11
	v_pack_b32_f16 v10, v13, v12
	s_delay_alu instid0(VALU_DEP_3)
	v_pack_b32_f16 v0, v0, v7
	ds_store_b32 v215, v6
	ds_store_b32 v215, v10 offset:1080
	ds_store_b32 v215, v0 offset:2160
	v_add_f16_e32 v0, v2, v35
	v_add_f16_e32 v2, v4, v37
	v_lshrrev_b32_e32 v6, 16, v8
	v_add_f16_e32 v7, v8, v38
	v_sub_f16_e32 v10, v39, v41
	s_delay_alu instid0(VALU_DEP_4)
	v_pack_b32_f16 v0, v0, v2
	v_pack_b32_f16 v2, v3, v5
	ds_store_b32 v216, v0 offset:6480
	ds_store_b32 v216, v2 offset:7560
	;; [unrolled: 1-line block ×3, first 2 shown]
	v_add_f16_e32 v0, v42, v43
	v_lshrrev_b32_e32 v1, 16, v9
	v_add_f16_e32 v2, v9, v42
	v_add_f16_e32 v7, v7, v40
	s_delay_alu instid0(VALU_DEP_4) | instskip(SKIP_2) | instid1(VALU_DEP_2)
	v_fmac_f16_e32 v9, -0.5, v0
	v_add_f16_e32 v0, v44, v45
	v_add_f16_e32 v3, v1, v44
	v_fmac_f16_e32 v1, -0.5, v0
	v_sub_f16_e32 v0, v44, v45
	s_delay_alu instid0(VALU_DEP_1) | instskip(SKIP_2) | instid1(VALU_DEP_1)
	v_fmamk_f16 v4, v0, 0xbaee, v9
	v_fmac_f16_e32 v9, 0x3aee, v0
	v_sub_f16_e32 v0, v42, v43
	v_fmamk_f16 v5, v0, 0x3aee, v1
	v_fmac_f16_e32 v1, 0xbaee, v0
	v_add_f16_e32 v0, v38, v40
	s_delay_alu instid0(VALU_DEP_2) | instskip(NEXT) | instid1(VALU_DEP_2)
	v_pack_b32_f16 v1, v9, v1
	v_fma_f16 v0, -0.5, v0, v8
	v_add_f16_e32 v8, v39, v41
	v_add_f16_e32 v9, v6, v39
	s_delay_alu instid0(VALU_DEP_3) | instskip(NEXT) | instid1(VALU_DEP_3)
	v_fmamk_f16 v11, v10, 0xbaee, v0
	v_fmac_f16_e32 v6, -0.5, v8
	v_sub_f16_e32 v8, v38, v40
	s_delay_alu instid0(VALU_DEP_4) | instskip(SKIP_1) | instid1(VALU_DEP_3)
	v_add_f16_e32 v9, v9, v41
	v_fmac_f16_e32 v0, 0x3aee, v10
	v_fmamk_f16 v10, v8, 0x3aee, v6
	v_fmac_f16_e32 v6, 0xbaee, v8
	s_delay_alu instid0(VALU_DEP_4) | instskip(NEXT) | instid1(VALU_DEP_3)
	v_pack_b32_f16 v7, v7, v9
	v_pack_b32_f16 v8, v11, v10
	s_delay_alu instid0(VALU_DEP_3)
	v_pack_b32_f16 v0, v0, v6
	ds_store_b32 v209, v7 offset:6480
	ds_store_b32 v209, v8 offset:7560
	;; [unrolled: 1-line block ×3, first 2 shown]
	v_add_f16_e32 v0, v2, v43
	v_add_f16_e32 v2, v3, v45
	s_delay_alu instid0(VALU_DEP_1)
	v_pack_b32_f16 v0, v0, v2
	v_pack_b32_f16 v2, v4, v5
	ds_store_b32 v210, v0 offset:6480
	ds_store_b32 v210, v2 offset:7560
	;; [unrolled: 1-line block ×3, first 2 shown]
	global_wb scope:SCOPE_SE
	s_wait_dscnt 0x0
	s_barrier_signal -1
	s_barrier_wait -1
	global_inv scope:SCOPE_SE
	ds_load_2addr_b32 v[0:1], v145 offset0:42 offset1:123
	s_wait_dscnt 0x0
	v_lshrrev_b32_e32 v2, 16, v0
	v_mul_f16_e64 v3, v161, v0
	s_delay_alu instid0(VALU_DEP_2) | instskip(NEXT) | instid1(VALU_DEP_2)
	v_mul_f16_e64 v4, v161, v2
	v_fma_f16 v5, v88, v2, -v3
	ds_load_2addr_b32 v[2:3], v166 offset0:84 offset1:165
	v_fmac_f16_e32 v4, v88, v0
	v_lshrrev_b32_e32 v0, 16, v1
	s_delay_alu instid0(VALU_DEP_1) | instskip(NEXT) | instid1(VALU_DEP_1)
	v_mul_f16_e64 v30, v187, v0
	v_fmac_f16_e32 v30, v86, v1
	v_mul_f16_e64 v1, v187, v1
	s_wait_dscnt 0x0
	v_lshrrev_b32_e32 v6, 16, v2
	s_delay_alu instid0(VALU_DEP_2) | instskip(SKIP_3) | instid1(VALU_DEP_2)
	v_fma_f16 v32, v86, v0, -v1
	ds_load_2addr_b32 v[0:1], v177 offset0:76 offset1:157
	v_mul_f16_e64 v7, v157, v2
	v_mul_f16_e64 v28, v157, v6
	v_fma_f16 v6, v89, v6, -v7
	v_mul_f16_e64 v7, v165, v3
	s_delay_alu instid0(VALU_DEP_3) | instskip(SKIP_1) | instid1(VALU_DEP_2)
	v_fmac_f16_e32 v28, v89, v2
	v_lshrrev_b32_e32 v2, 16, v3
	v_add_f16_e32 v29, v4, v28
	s_delay_alu instid0(VALU_DEP_2) | instskip(SKIP_1) | instid1(VALU_DEP_2)
	v_mul_f16_e64 v31, v165, v2
	v_fma_f16 v33, v87, v2, -v7
	v_fmac_f16_e32 v31, v87, v3
	s_wait_dscnt 0x0
	v_lshrrev_b32_e32 v2, 16, v0
	v_mul_f16_e64 v3, v149, v0
	s_delay_alu instid0(VALU_DEP_2) | instskip(NEXT) | instid1(VALU_DEP_2)
	v_mul_f16_e64 v34, v149, v2
	v_fma_f16 v35, v84, v2, -v3
	ds_load_2addr_b32 v[2:3], v55 offset0:118 offset1:199
	v_fmac_f16_e32 v34, v84, v0
	v_lshrrev_b32_e32 v0, 16, v1
	s_delay_alu instid0(VALU_DEP_1) | instskip(NEXT) | instid1(VALU_DEP_1)
	v_mul_f16_e64 v38, v154, v0
	v_fmac_f16_e32 v38, v82, v1
	v_mul_f16_e64 v1, v154, v1
	s_wait_dscnt 0x0
	v_lshrrev_b32_e32 v7, 16, v2
	s_delay_alu instid0(VALU_DEP_2) | instskip(SKIP_3) | instid1(VALU_DEP_2)
	v_fma_f16 v40, v82, v0, -v1
	ds_load_2addr_b32 v[0:1], v172 offset0:110 offset1:191
	v_mul_f16_e64 v8, v163, v2
	v_mul_f16_e64 v36, v163, v7
	v_fma_f16 v37, v85, v7, -v8
	v_mul_f16_e64 v7, v148, v3
	s_delay_alu instid0(VALU_DEP_3) | instskip(SKIP_1) | instid1(VALU_DEP_1)
	v_fmac_f16_e32 v36, v85, v2
	v_lshrrev_b32_e32 v2, 16, v3
	v_mul_f16_e64 v39, v148, v2
	s_delay_alu instid0(VALU_DEP_4) | instskip(NEXT) | instid1(VALU_DEP_2)
	v_fma_f16 v41, v83, v2, -v7
	v_fmac_f16_e32 v39, v83, v3
	s_wait_dscnt 0x0
	v_lshrrev_b32_e32 v2, 16, v0
	v_mul_f16_e32 v3, v120, v0
	s_delay_alu instid0(VALU_DEP_2) | instskip(NEXT) | instid1(VALU_DEP_2)
	v_mul_f16_e32 v8, v120, v2
	v_fma_f16 v42, v96, v2, -v3
	ds_load_2addr_b32 v[2:3], v162 offset0:152 offset1:233
	v_fmac_f16_e32 v8, v96, v0
	v_lshrrev_b32_e32 v0, 16, v1
	s_delay_alu instid0(VALU_DEP_1) | instskip(NEXT) | instid1(VALU_DEP_1)
	v_mul_f16_e32 v43, v114, v0
	v_fmac_f16_e32 v43, v94, v1
	v_mul_f16_e32 v1, v114, v1
	s_wait_dscnt 0x0
	v_lshrrev_b32_e32 v7, 16, v2
	s_delay_alu instid0(VALU_DEP_2) | instskip(SKIP_3) | instid1(VALU_DEP_2)
	v_fma_f16 v44, v94, v0, -v1
	ds_load_2addr_b32 v[0:1], v144 offset0:16 offset1:97
	v_mul_f16_e32 v10, v121, v2
	v_mul_f16_e32 v9, v121, v7
	v_fma_f16 v10, v97, v7, -v10
	v_mul_f16_e32 v7, v115, v3
	s_delay_alu instid0(VALU_DEP_3) | instskip(SKIP_1) | instid1(VALU_DEP_1)
	v_fmac_f16_e32 v9, v97, v2
	v_lshrrev_b32_e32 v2, 16, v3
	v_mul_f16_e32 v11, v115, v2
	s_delay_alu instid0(VALU_DEP_4) | instskip(NEXT) | instid1(VALU_DEP_2)
	v_fma_f16 v12, v95, v2, -v7
	v_fmac_f16_e32 v11, v95, v3
	s_wait_dscnt 0x0
	v_lshrrev_b32_e32 v2, 16, v0
	v_mul_f16_e32 v3, v112, v0
	s_delay_alu instid0(VALU_DEP_2) | instskip(NEXT) | instid1(VALU_DEP_2)
	v_mul_f16_e32 v13, v112, v2
	v_fma_f16 v45, v92, v2, -v3
	ds_load_2addr_b32 v[2:3], v169 offset0:58 offset1:139
	v_fmac_f16_e32 v13, v92, v0
	v_lshrrev_b32_e32 v0, 16, v1
	s_delay_alu instid0(VALU_DEP_1) | instskip(NEXT) | instid1(VALU_DEP_1)
	v_mul_f16_e32 v15, v110, v0
	v_fmac_f16_e32 v15, v90, v1
	v_mul_f16_e32 v1, v110, v1
	s_wait_dscnt 0x0
	v_lshrrev_b32_e32 v7, 16, v2
	s_delay_alu instid0(VALU_DEP_2) | instskip(SKIP_3) | instid1(VALU_DEP_2)
	v_fma_f16 v22, v90, v0, -v1
	ds_load_2addr_b32 v[0:1], v167 offset0:50 offset1:131
	v_mul_f16_e32 v14, v113, v2
	v_mul_f16_e32 v19, v113, v7
	v_fma_f16 v20, v93, v7, -v14
	v_mul_f16_e32 v7, v111, v3
	s_delay_alu instid0(VALU_DEP_3) | instskip(SKIP_1) | instid1(VALU_DEP_1)
	v_fmac_f16_e32 v19, v93, v2
	v_lshrrev_b32_e32 v2, 16, v3
	v_mul_f16_e32 v21, v111, v2
	s_delay_alu instid0(VALU_DEP_4) | instskip(NEXT) | instid1(VALU_DEP_2)
	v_fma_f16 v23, v91, v2, -v7
	v_fmac_f16_e32 v21, v91, v3
	s_wait_dscnt 0x0
	v_lshrrev_b32_e32 v2, 16, v0
	v_mul_f16_e32 v3, v107, v0
	s_delay_alu instid0(VALU_DEP_2) | instskip(NEXT) | instid1(VALU_DEP_2)
	v_mul_f16_e32 v14, v107, v2
	v_fma_f16 v18, v100, v2, -v3
	ds_load_2addr_b32 v[2:3], v153 offset0:92 offset1:173
	v_fmac_f16_e32 v14, v100, v0
	s_wait_dscnt 0x0
	v_lshrrev_b32_e32 v7, 16, v2
	v_mul_f16_e32 v17, v108, v2
	v_mul_f16_e32 v26, v106, v3
	s_delay_alu instid0(VALU_DEP_3) | instskip(NEXT) | instid1(VALU_DEP_3)
	v_mul_f16_e32 v16, v108, v7
	v_fma_f16 v17, v101, v7, -v17
	v_mul_f16_e32 v7, v109, v1
	s_delay_alu instid0(VALU_DEP_3) | instskip(SKIP_1) | instid1(VALU_DEP_1)
	v_fmac_f16_e32 v16, v101, v2
	v_lshrrev_b32_e32 v2, 16, v1
	v_mul_f16_e32 v24, v109, v2
	s_delay_alu instid0(VALU_DEP_4) | instskip(NEXT) | instid1(VALU_DEP_2)
	v_fma_f16 v25, v98, v2, -v7
	v_fmac_f16_e32 v24, v98, v1
	v_lshrrev_b32_e32 v1, 16, v3
	s_delay_alu instid0(VALU_DEP_1)
	v_mul_f16_e32 v0, v106, v1
	v_fma_f16 v1, v99, v1, -v26
	ds_load_2addr_b32 v[26:27], v171 offset1:81
	v_fmac_f16_e32 v0, v99, v3
	v_add_f16_e32 v3, v5, v6
	s_wait_dscnt 0x0
	v_lshrrev_b32_e32 v2, 16, v26
	v_lshrrev_b32_e32 v48, 16, v27
	s_delay_alu instid0(VALU_DEP_2)
	v_add_f16_e32 v7, v2, v5
	v_fmac_f16_e32 v2, -0.5, v3
	v_add_f16_e32 v3, v26, v4
	v_sub_f16_e32 v4, v4, v28
	v_fma_f16 v26, -0.5, v29, v26
	v_sub_f16_e32 v5, v5, v6
	s_delay_alu instid0(VALU_DEP_4) | instskip(NEXT) | instid1(VALU_DEP_2)
	v_add_f16_e32 v3, v3, v28
	v_fmamk_f16 v28, v5, 0xbaee, v26
	v_fmac_f16_e32 v26, 0x3aee, v5
	v_add_f16_e32 v5, v7, v6
	v_fmamk_f16 v6, v4, 0x3aee, v2
	v_fmac_f16_e32 v2, 0xbaee, v4
	s_delay_alu instid0(VALU_DEP_3) | instskip(SKIP_1) | instid1(VALU_DEP_3)
	v_pack_b32_f16 v46, v3, v5
	v_add_f16_e32 v3, v48, v32
	v_pack_b32_f16 v26, v26, v2
	v_add_f16_e32 v2, v27, v30
	v_pack_b32_f16 v47, v28, v6
	s_delay_alu instid0(VALU_DEP_4) | instskip(NEXT) | instid1(VALU_DEP_3)
	v_add_f16_e32 v3, v3, v33
	v_add_f16_e32 v2, v2, v31
	s_delay_alu instid0(VALU_DEP_1)
	v_pack_b32_f16 v49, v2, v3
	ds_load_2addr_b32 v[28:29], v171 offset0:162 offset1:243
	ds_load_2addr_b32 v[6:7], v150 offset0:68 offset1:149
	;; [unrolled: 1-line block ×4, first 2 shown]
	ds_store_b32 v171, v47 offset:3240
	ds_store_b32 v171, v26 offset:6480
	ds_store_2addr_b32 v171, v46, v49 offset1:81
	v_add_f16_e32 v26, v30, v31
	s_delay_alu instid0(VALU_DEP_1) | instskip(SKIP_2) | instid1(VALU_DEP_2)
	v_fmac_f16_e32 v27, -0.5, v26
	v_add_f16_e32 v26, v32, v33
	v_sub_f16_e32 v32, v32, v33
	v_fmac_f16_e32 v48, -0.5, v26
	v_sub_f16_e32 v26, v30, v31
	s_delay_alu instid0(VALU_DEP_3) | instskip(SKIP_2) | instid1(VALU_DEP_4)
	v_fmamk_f16 v30, v32, 0xbaee, v27
	v_fmac_f16_e32 v27, 0x3aee, v32
	v_add_f16_e32 v32, v35, v37
	v_fmamk_f16 v31, v26, 0x3aee, v48
	v_fmac_f16_e32 v48, 0xbaee, v26
	s_delay_alu instid0(VALU_DEP_2) | instskip(NEXT) | instid1(VALU_DEP_2)
	v_pack_b32_f16 v30, v30, v31
	v_pack_b32_f16 v26, v27, v48
	s_wait_dscnt 0x6
	v_lshrrev_b32_e32 v27, 16, v28
	v_add_f16_e32 v31, v34, v36
	s_delay_alu instid0(VALU_DEP_2) | instskip(SKIP_1) | instid1(VALU_DEP_3)
	v_add_f16_e32 v33, v27, v35
	v_fmac_f16_e32 v27, -0.5, v32
	v_fma_f16 v31, -0.5, v31, v28
	v_sub_f16_e32 v32, v35, v37
	v_sub_f16_e32 v35, v34, v36
	s_delay_alu instid0(VALU_DEP_2) | instskip(NEXT) | instid1(VALU_DEP_2)
	v_fmamk_f16 v46, v32, 0xbaee, v31
	v_fmamk_f16 v47, v35, 0x3aee, v27
	v_fmac_f16_e32 v31, 0x3aee, v32
	v_fmac_f16_e32 v27, 0xbaee, v35
	v_sub_f16_e32 v32, v8, v9
	s_delay_alu instid0(VALU_DEP_4) | instskip(NEXT) | instid1(VALU_DEP_3)
	v_pack_b32_f16 v46, v46, v47
	v_pack_b32_f16 v27, v31, v27
	v_add_f16_e32 v31, v42, v10
	ds_store_2addr_b32 v145, v30, v46 offset0:123 offset1:204
	ds_store_2addr_b32 v166, v26, v27 offset0:165 offset1:246
	v_add_f16_e32 v26, v28, v34
	v_add_f16_e32 v27, v33, v37
	v_lshrrev_b32_e32 v28, 16, v29
	v_sub_f16_e32 v37, v13, v19
	s_delay_alu instid0(VALU_DEP_4) | instskip(SKIP_1) | instid1(VALU_DEP_4)
	v_add_f16_e32 v26, v26, v36
	v_sub_f16_e32 v36, v45, v20
	v_add_f16_e32 v30, v28, v40
	s_delay_alu instid0(VALU_DEP_3) | instskip(SKIP_1) | instid1(VALU_DEP_3)
	v_pack_b32_f16 v26, v26, v27
	v_add_f16_e32 v27, v29, v38
	v_add_f16_e32 v30, v30, v41
	s_delay_alu instid0(VALU_DEP_2) | instskip(NEXT) | instid1(VALU_DEP_1)
	v_add_f16_e32 v27, v27, v39
	v_pack_b32_f16 v27, v27, v30
	ds_store_2addr_b32 v171, v26, v27 offset0:162 offset1:243
	v_add_f16_e32 v26, v38, v39
	v_sub_f16_e32 v27, v40, v41
	s_delay_alu instid0(VALU_DEP_2) | instskip(SKIP_1) | instid1(VALU_DEP_2)
	v_fmac_f16_e32 v29, -0.5, v26
	v_add_f16_e32 v26, v40, v41
	v_fmamk_f16 v30, v27, 0xbaee, v29
	s_delay_alu instid0(VALU_DEP_2) | instskip(SKIP_2) | instid1(VALU_DEP_2)
	v_fmac_f16_e32 v28, -0.5, v26
	v_sub_f16_e32 v26, v38, v39
	v_fmac_f16_e32 v29, 0x3aee, v27
	v_fmamk_f16 v27, v26, 0x3aee, v28
	v_fmac_f16_e32 v28, 0xbaee, v26
	s_delay_alu instid0(VALU_DEP_2) | instskip(NEXT) | instid1(VALU_DEP_2)
	v_pack_b32_f16 v27, v30, v27
	v_pack_b32_f16 v28, v29, v28
	s_wait_dscnt 0x8
	v_lshrrev_b32_e32 v29, 16, v6
	v_add_f16_e32 v30, v8, v9
	s_delay_alu instid0(VALU_DEP_2) | instskip(SKIP_1) | instid1(VALU_DEP_3)
	v_add_f16_e32 v26, v29, v42
	v_fmac_f16_e32 v29, -0.5, v31
	v_fma_f16 v30, -0.5, v30, v6
	v_sub_f16_e32 v31, v42, v10
	v_add_f16_e32 v6, v6, v8
	s_delay_alu instid0(VALU_DEP_4) | instskip(SKIP_1) | instid1(VALU_DEP_4)
	v_fmamk_f16 v34, v32, 0x3aee, v29
	v_fmac_f16_e32 v29, 0xbaee, v32
	v_fmamk_f16 v33, v31, 0xbaee, v30
	v_fmac_f16_e32 v30, 0x3aee, v31
	s_wait_dscnt 0x7
	v_lshrrev_b32_e32 v31, 16, v4
	v_add_f16_e32 v32, v45, v20
	v_add_f16_e32 v6, v6, v9
	v_pack_b32_f16 v33, v33, v34
	ds_store_2addr_b32 v172, v27, v33 offset0:29 offset1:110
	v_pack_b32_f16 v27, v30, v29
	v_lshrrev_b32_e32 v30, 16, v7
	v_sub_f16_e32 v33, v43, v11
	ds_store_2addr_b32 v162, v28, v27 offset0:71 offset1:152
	v_add_f16_e32 v28, v43, v11
	v_add_f16_e32 v27, v7, v43
	;; [unrolled: 1-line block ×3, first 2 shown]
	s_delay_alu instid0(VALU_DEP_3) | instskip(SKIP_1) | instid1(VALU_DEP_3)
	v_fmac_f16_e32 v7, -0.5, v28
	v_add_f16_e32 v28, v44, v12
	v_add_f16_e32 v9, v29, v12
	s_delay_alu instid0(VALU_DEP_2) | instskip(SKIP_3) | instid1(VALU_DEP_4)
	v_fmac_f16_e32 v30, -0.5, v28
	v_add_f16_e32 v28, v31, v45
	v_fmac_f16_e32 v31, -0.5, v32
	v_sub_f16_e32 v32, v44, v12
	v_fmamk_f16 v35, v33, 0x3aee, v30
	v_fmac_f16_e32 v30, 0xbaee, v33
	s_delay_alu instid0(VALU_DEP_4) | instskip(NEXT) | instid1(VALU_DEP_4)
	v_fmamk_f16 v39, v37, 0x3aee, v31
	v_fmamk_f16 v34, v32, 0xbaee, v7
	v_fmac_f16_e32 v7, 0x3aee, v32
	scratch_load_b64 v[32:33], off, off offset:216 th:TH_LOAD_LU ; 8-byte Folded Reload
	v_fmac_f16_e32 v31, 0xbaee, v37
	v_pack_b32_f16 v34, v34, v35
	v_add_f16_e32 v35, v13, v19
	v_pack_b32_f16 v7, v7, v30
	v_add_nc_u32_e32 v30, 0x1e00, v171
	s_delay_alu instid0(VALU_DEP_3) | instskip(SKIP_1) | instid1(VALU_DEP_2)
	v_fma_f16 v35, -0.5, v35, v4
	v_add_f16_e32 v4, v4, v13
	v_fmamk_f16 v38, v36, 0xbaee, v35
	v_fmac_f16_e32 v35, 0x3aee, v36
	s_delay_alu instid0(VALU_DEP_3) | instskip(NEXT) | instid1(VALU_DEP_3)
	v_add_f16_e32 v4, v4, v19
	v_pack_b32_f16 v38, v38, v39
	s_delay_alu instid0(VALU_DEP_3)
	v_pack_b32_f16 v31, v35, v31
	v_add_nc_u32_e32 v39, 0x1200, v171
	ds_store_2addr_b32 v30, v7, v31 offset0:105 offset1:186
	ds_store_2addr_b32 v39, v34, v38 offset0:63 offset1:144
	s_wait_loadcnt 0x0
	v_mad_co_u64_u32 v[30:31], null, s10, v32, 0
	s_delay_alu instid0(VALU_DEP_1) | instskip(NEXT) | instid1(VALU_DEP_1)
	v_mov_b32_e32 v7, v31
	v_mad_co_u64_u32 v[31:32], null, s11, v32, v[7:8]
	v_mad_co_u64_u32 v[32:33], null, s8, v174, 0
	s_mov_b32 s10, 0x40e53dbc
	s_mov_b32 s11, 0x3f3af834
	s_delay_alu instid0(VALU_DEP_2) | instskip(NEXT) | instid1(VALU_DEP_2)
	v_lshlrev_b64_e32 v[30:31], 2, v[30:31]
	v_mov_b32_e32 v7, v33
	s_delay_alu instid0(VALU_DEP_1) | instskip(NEXT) | instid1(VALU_DEP_3)
	v_mad_co_u64_u32 v[33:34], null, s9, v174, v[7:8]
	v_add_co_u32 v7, vcc_lo, s0, v30
	s_wait_alu 0xfffd
	s_delay_alu instid0(VALU_DEP_4) | instskip(SKIP_4) | instid1(VALU_DEP_1)
	v_add_co_ci_u32_e32 v34, vcc_lo, s1, v31, vcc_lo
	v_add_f16_e32 v8, v27, v11
	s_wait_dscnt 0xa
	v_add_f16_e32 v11, v3, v24
	v_lshlrev_b64_e32 v[30:31], 2, v[32:33]
	v_add_co_u32 v30, vcc_lo, v7, v30
	v_add_f16_e32 v7, v26, v10
	v_lshrrev_b32_e32 v10, 16, v3
	s_wait_alu 0xfffd
	s_delay_alu instid0(VALU_DEP_4) | instskip(NEXT) | instid1(VALU_DEP_3)
	v_add_co_ci_u32_e32 v31, vcc_lo, v34, v31, vcc_lo
	v_pack_b32_f16 v6, v6, v7
	v_pack_b32_f16 v7, v8, v9
	v_add_f16_e32 v13, v10, v25
	ds_store_2addr_b32 v150, v6, v7 offset0:68 offset1:149
	v_add_f16_e32 v6, v28, v20
	v_lshrrev_b32_e32 v7, 16, v5
	s_delay_alu instid0(VALU_DEP_2) | instskip(SKIP_1) | instid1(VALU_DEP_3)
	v_pack_b32_f16 v4, v4, v6
	v_add_f16_e32 v6, v5, v15
	v_add_f16_e32 v8, v7, v22
	s_delay_alu instid0(VALU_DEP_2) | instskip(NEXT) | instid1(VALU_DEP_2)
	v_add_f16_e32 v6, v6, v21
	v_add_f16_e32 v8, v8, v23
	s_delay_alu instid0(VALU_DEP_1) | instskip(SKIP_3) | instid1(VALU_DEP_2)
	v_pack_b32_f16 v6, v6, v8
	ds_store_2addr_b32 v179, v4, v6 offset0:102 offset1:183
	v_add_f16_e32 v4, v15, v21
	v_sub_f16_e32 v6, v22, v23
	v_fmac_f16_e32 v5, -0.5, v4
	v_add_f16_e32 v4, v22, v23
	s_delay_alu instid0(VALU_DEP_2) | instskip(NEXT) | instid1(VALU_DEP_2)
	v_fmamk_f16 v8, v6, 0xbaee, v5
	v_fmac_f16_e32 v7, -0.5, v4
	v_sub_f16_e32 v4, v15, v21
	v_fmac_f16_e32 v5, 0x3aee, v6
	s_delay_alu instid0(VALU_DEP_2) | instskip(SKIP_1) | instid1(VALU_DEP_2)
	v_fmamk_f16 v6, v4, 0x3aee, v7
	v_fmac_f16_e32 v7, 0xbaee, v4
	v_pack_b32_f16 v6, v8, v6
	s_delay_alu instid0(VALU_DEP_2) | instskip(SKIP_3) | instid1(VALU_DEP_3)
	v_pack_b32_f16 v4, v5, v7
	v_lshrrev_b32_e32 v5, 16, v2
	v_add_f16_e32 v7, v18, v17
	v_sub_f16_e32 v8, v18, v17
	v_add_f16_e32 v9, v5, v18
	s_delay_alu instid0(VALU_DEP_3) | instskip(SKIP_1) | instid1(VALU_DEP_1)
	v_fmac_f16_e32 v5, -0.5, v7
	v_add_f16_e32 v7, v24, v0
	v_fmac_f16_e32 v3, -0.5, v7
	v_sub_f16_e32 v7, v25, v1
	s_delay_alu instid0(VALU_DEP_1) | instskip(SKIP_3) | instid1(VALU_DEP_2)
	v_fmamk_f16 v12, v7, 0xbaee, v3
	v_fmac_f16_e32 v3, 0x3aee, v7
	v_add_f16_e32 v7, v25, v1
	v_add_f16_e32 v1, v13, v1
	v_fmac_f16_e32 v10, -0.5, v7
	v_sub_f16_e32 v7, v24, v0
	v_add_f16_e32 v0, v11, v0
	s_delay_alu instid0(VALU_DEP_2) | instskip(SKIP_2) | instid1(VALU_DEP_4)
	v_fmamk_f16 v15, v7, 0x3aee, v10
	v_fmac_f16_e32 v10, 0xbaee, v7
	v_add_f16_e32 v7, v14, v16
	v_pack_b32_f16 v0, v0, v1
	s_delay_alu instid0(VALU_DEP_3) | instskip(NEXT) | instid1(VALU_DEP_3)
	v_pack_b32_f16 v3, v3, v10
	v_fma_f16 v7, -0.5, v7, v2
	v_sub_f16_e32 v10, v14, v16
	v_add_f16_e32 v2, v2, v14
	s_delay_alu instid0(VALU_DEP_3) | instskip(NEXT) | instid1(VALU_DEP_3)
	v_fmamk_f16 v14, v8, 0xbaee, v7
	v_fmamk_f16 v18, v10, 0x3aee, v5
	s_delay_alu instid0(VALU_DEP_3) | instskip(SKIP_2) | instid1(VALU_DEP_4)
	v_add_f16_e32 v2, v2, v16
	v_fmac_f16_e32 v7, 0x3aee, v8
	v_fmac_f16_e32 v5, 0xbaee, v10
	v_pack_b32_f16 v14, v14, v18
	ds_store_b32 v171, v4 offset:8748
	ds_store_2addr_b32 v144, v6, v14 offset0:97 offset1:178
	v_add_f16_e32 v4, v9, v17
	s_delay_alu instid0(VALU_DEP_1)
	v_pack_b32_f16 v2, v2, v4
	ds_store_2addr_b32 v176, v2, v0 offset0:136 offset1:217
	v_pack_b32_f16 v0, v7, v5
	ds_store_2addr_b32 v153, v0, v3 offset0:92 offset1:173
	v_pack_b32_f16 v0, v12, v15
	ds_store_b32 v171, v0 offset:6156
	global_wb scope:SCOPE_SE
	s_wait_dscnt 0x0
	s_barrier_signal -1
	s_barrier_wait -1
	global_inv scope:SCOPE_SE
	s_clause 0xc
	scratch_load_b32 v23, off, off offset:240 th:TH_LOAD_LU
	scratch_load_b32 v24, off, off offset:244 th:TH_LOAD_LU
	;; [unrolled: 1-line block ×13, first 2 shown]
	ds_load_2addr_b32 v[1:2], v171 offset1:81
	ds_load_2addr_b32 v[8:9], v171 offset0:162 offset1:243
	s_wait_dscnt 0x1
	v_lshrrev_b32_e32 v0, 16, v1
	s_wait_dscnt 0x0
	v_lshrrev_b32_e32 v16, 16, v9
	s_wait_loadcnt 0xc
	v_mul_f16_e32 v3, v23, v1
	s_wait_loadcnt 0xb
	s_delay_alu instid0(VALU_DEP_1) | instskip(SKIP_1) | instid1(VALU_DEP_2)
	v_fma_f16 v3, v24, v0, -v3
	v_mul_f16_e32 v0, v23, v0
	v_cvt_f32_f16_e32 v3, v3
	s_delay_alu instid0(VALU_DEP_2) | instskip(NEXT) | instid1(VALU_DEP_2)
	v_fmac_f16_e32 v0, v24, v1
	v_cvt_f64_f32_e32 v[3:4], v3
	s_delay_alu instid0(VALU_DEP_2) | instskip(NEXT) | instid1(VALU_DEP_1)
	v_cvt_f32_f16_e32 v0, v0
	v_cvt_f64_f32_e32 v[0:1], v0
	s_wait_alu 0xfffe
	s_delay_alu instid0(VALU_DEP_3) | instskip(NEXT) | instid1(VALU_DEP_2)
	v_mul_f64_e32 v[5:6], s[10:11], v[3:4]
	v_mul_f64_e32 v[0:1], s[10:11], v[0:1]
	s_delay_alu instid0(VALU_DEP_2) | instskip(SKIP_3) | instid1(VALU_DEP_4)
	v_and_or_b32 v3, 0x1ff, v6, v5
	v_lshrrev_b32_e32 v4, 8, v6
	v_bfe_u32 v10, v6, 20, 11
	v_lshrrev_b32_e32 v6, 16, v6
	v_cmp_ne_u32_e32 vcc_lo, 0, v3
	v_and_or_b32 v0, 0x1ff, v1, v0
	s_wait_alu 0xfffd
	v_cndmask_b32_e64 v3, 0, 1, vcc_lo
	s_delay_alu instid0(VALU_DEP_2) | instskip(NEXT) | instid1(VALU_DEP_2)
	v_cmp_ne_u32_e64 s2, 0, v0
	v_and_or_b32 v7, 0xffe, v4, v3
	v_sub_nc_u32_e32 v3, 0x3f1, v10
	s_wait_alu 0xf1ff
	s_delay_alu instid0(VALU_DEP_3) | instskip(NEXT) | instid1(VALU_DEP_3)
	v_cndmask_b32_e64 v0, 0, 1, s2
	v_or_b32_e32 v4, 0x1000, v7
	s_delay_alu instid0(VALU_DEP_3) | instskip(NEXT) | instid1(VALU_DEP_1)
	v_med3_i32 v3, v3, 0, 13
	v_lshrrev_b32_e32 v14, v3, v4
	s_delay_alu instid0(VALU_DEP_1) | instskip(NEXT) | instid1(VALU_DEP_1)
	v_lshlrev_b32_e32 v3, v3, v14
	v_cmp_ne_u32_e64 s1, v3, v4
	s_wait_loadcnt 0xa
	v_mul_f16_e32 v3, v25, v9
	s_wait_loadcnt 0x9
	s_delay_alu instid0(VALU_DEP_1) | instskip(NEXT) | instid1(VALU_DEP_1)
	v_fma_f16 v3, v26, v16, -v3
	v_cvt_f32_f16_e32 v3, v3
	s_delay_alu instid0(VALU_DEP_1) | instskip(NEXT) | instid1(VALU_DEP_1)
	v_cvt_f64_f32_e32 v[3:4], v3
	v_mul_f64_e32 v[12:13], s[10:11], v[3:4]
	s_delay_alu instid0(VALU_DEP_1)
	v_and_or_b32 v3, 0x1ff, v13, v12
	v_lshrrev_b32_e32 v4, 8, v13
	v_bfe_u32 v19, v13, 20, 11
	ds_load_2addr_b32 v[11:12], v179 offset0:102 offset1:183
	v_cmp_ne_u32_e32 vcc_lo, 0, v3
	s_wait_alu 0xfffd
	v_cndmask_b32_e64 v3, 0, 1, vcc_lo
	s_delay_alu instid0(VALU_DEP_1) | instskip(SKIP_1) | instid1(VALU_DEP_2)
	v_and_or_b32 v18, 0xffe, v4, v3
	v_sub_nc_u32_e32 v3, 0x3f1, v19
	v_or_b32_e32 v4, 0x1000, v18
	s_delay_alu instid0(VALU_DEP_2) | instskip(SKIP_2) | instid1(VALU_DEP_2)
	v_med3_i32 v3, v3, 0, 13
	s_wait_dscnt 0x0
	v_lshrrev_b32_e32 v17, 16, v11
	v_lshrrev_b32_e32 v20, v3, v4
	s_delay_alu instid0(VALU_DEP_1) | instskip(NEXT) | instid1(VALU_DEP_1)
	v_lshlrev_b32_e32 v3, v3, v20
	v_cmp_ne_u32_e64 s0, v3, v4
	s_wait_loadcnt 0x8
	v_mul_f16_e32 v3, v34, v11
	s_wait_loadcnt 0x0
	s_delay_alu instid0(VALU_DEP_1)
	v_fma_f16 v3, v35, v17, -v3
	v_mul_f16_e32 v17, v34, v17
	scratch_load_b32 v34, off, off offset:188 th:TH_LOAD_LU ; 4-byte Folded Reload
	v_cvt_f32_f16_e32 v3, v3
	v_fmac_f16_e32 v17, v35, v11
	scratch_load_b32 v35, off, off offset:196 th:TH_LOAD_LU ; 4-byte Folded Reload
	v_cvt_f64_f32_e32 v[3:4], v3
	v_cvt_f32_f16_e32 v11, v17
	s_delay_alu instid0(VALU_DEP_2) | instskip(NEXT) | instid1(VALU_DEP_1)
	v_mul_f64_e32 v[3:4], s[10:11], v[3:4]
	v_and_or_b32 v3, 0x1ff, v4, v3
	v_lshrrev_b32_e32 v5, 8, v4
	s_delay_alu instid0(VALU_DEP_2) | instskip(SKIP_2) | instid1(VALU_DEP_1)
	v_cmp_ne_u32_e32 vcc_lo, 0, v3
	s_wait_alu 0xfffd
	v_cndmask_b32_e64 v3, 0, 1, vcc_lo
	v_and_or_b32 v3, 0xffe, v5, v3
	v_bfe_u32 v5, v4, 20, 11
	v_lshrrev_b32_e32 v4, 16, v4
	s_delay_alu instid0(VALU_DEP_3) | instskip(NEXT) | instid1(VALU_DEP_3)
	v_or_b32_e32 v22, 0x1000, v3
	v_sub_nc_u32_e32 v15, 0x3f1, v5
	v_add_nc_u32_e32 v5, 0xfffffc10, v5
	s_delay_alu instid0(VALU_DEP_2) | instskip(NEXT) | instid1(VALU_DEP_1)
	v_med3_i32 v21, v15, 0, 13
	v_lshrrev_b32_e32 v15, v21, v22
	s_delay_alu instid0(VALU_DEP_1) | instskip(NEXT) | instid1(VALU_DEP_1)
	v_lshlrev_b32_e32 v21, v21, v15
	v_cmp_ne_u32_e32 vcc_lo, v21, v22
	v_lshrrev_b32_e32 v21, 8, v1
	s_delay_alu instid0(VALU_DEP_1) | instskip(SKIP_2) | instid1(VALU_DEP_3)
	v_and_or_b32 v0, 0xffe, v21, v0
	v_bfe_u32 v21, v1, 20, 11
	v_lshrrev_b32_e32 v1, 16, v1
	v_or_b32_e32 v23, 0x1000, v0
	s_delay_alu instid0(VALU_DEP_3) | instskip(SKIP_1) | instid1(VALU_DEP_2)
	v_sub_nc_u32_e32 v22, 0x3f1, v21
	v_add_nc_u32_e32 v21, 0xfffffc10, v21
	v_med3_i32 v22, v22, 0, 13
	s_delay_alu instid0(VALU_DEP_1) | instskip(NEXT) | instid1(VALU_DEP_1)
	v_lshrrev_b32_e32 v24, v22, v23
	v_lshlrev_b32_e32 v22, v22, v24
	s_delay_alu instid0(VALU_DEP_1) | instskip(SKIP_2) | instid1(VALU_DEP_2)
	v_cmp_ne_u32_e64 s2, v22, v23
	v_lshl_or_b32 v23, v21, 12, v0
	s_wait_alu 0xf1ff
	v_cndmask_b32_e64 v22, 0, 1, s2
	v_cmp_gt_i32_e64 s2, 1, v21
	s_delay_alu instid0(VALU_DEP_2) | instskip(SKIP_1) | instid1(VALU_DEP_1)
	v_or_b32_e32 v22, v24, v22
	s_wait_alu 0xf1ff
	v_cndmask_b32_e64 v22, v23, v22, s2
	s_delay_alu instid0(VALU_DEP_1) | instskip(NEXT) | instid1(VALU_DEP_1)
	v_and_b32_e32 v23, 7, v22
	v_cmp_lt_i32_e64 s2, 5, v23
	v_cmp_eq_u32_e64 s3, 3, v23
	v_cndmask_b32_e64 v23, 0, 1, s1
	v_cmp_ne_u32_e64 s1, 0, v0
	v_add_nc_u32_e32 v0, 0xfffffc10, v10
	s_delay_alu instid0(VALU_DEP_4) | instskip(NEXT) | instid1(VALU_DEP_3)
	s_or_b32 s2, s3, s2
	v_or_b32_e32 v14, v14, v23
	v_cmp_ne_u32_e64 s3, 0, v7
	s_delay_alu instid0(VALU_DEP_3) | instskip(SKIP_1) | instid1(VALU_DEP_1)
	v_lshl_or_b32 v10, v0, 12, v7
	v_cmp_gt_i32_e64 s4, 1, v0
	v_cndmask_b32_e64 v10, v10, v14, s4
	v_lshrrev_b32_e32 v14, 2, v22
	v_cndmask_b32_e64 v22, 0, 1, s1
	v_cmp_eq_u32_e64 s1, 0x40f, v21
	v_cmp_gt_i32_e64 s4, 1, v5
	v_lshrrev_b32_e32 v7, 2, v10
	s_wait_alu 0xfffe
	v_add_co_ci_u32_e64 v14, s2, 0, v14, s2
	v_cmp_gt_i32_e64 s2, 31, v21
	v_lshl_or_b32 v22, v22, 9, 0x7c00
	v_and_b32_e32 v21, 7, v10
	s_wait_alu 0xf1ff
	v_cndmask_b32_e64 v10, 0, 1, s3
	v_cndmask_b32_e64 v14, 0x7c00, v14, s2
	s_delay_alu instid0(VALU_DEP_3) | instskip(NEXT) | instid1(VALU_DEP_3)
	v_cmp_eq_u32_e64 s2, 3, v21
	v_lshl_or_b32 v10, v10, 9, 0x7c00
	s_delay_alu instid0(VALU_DEP_3) | instskip(SKIP_1) | instid1(VALU_DEP_2)
	v_cndmask_b32_e64 v14, v14, v22, s1
	v_cmp_lt_i32_e64 s1, 5, v21
	v_and_or_b32 v1, 0x8000, v1, v14
	s_delay_alu instid0(VALU_DEP_2)
	s_or_b32 s1, s2, s1
	s_wait_alu 0xfffe
	v_add_co_ci_u32_e64 v7, s1, 0, v7, s1
	v_cmp_gt_i32_e64 s1, 31, v0
	v_and_b32_e32 v1, 0xffff, v1
	s_wait_alu 0xf1ff
	s_delay_alu instid0(VALU_DEP_2) | instskip(SKIP_2) | instid1(VALU_DEP_1)
	v_cndmask_b32_e64 v7, 0x7c00, v7, s1
	v_cmp_eq_u32_e64 s1, 0x40f, v0
	s_wait_alu 0xf1ff
	v_cndmask_b32_e64 v0, v7, v10, s1
	s_delay_alu instid0(VALU_DEP_1) | instskip(SKIP_1) | instid1(VALU_DEP_2)
	v_and_or_b32 v0, 0x8000, v6, v0
	v_mul_f16_e32 v6, v25, v16
	v_lshl_or_b32 v0, v0, 16, v1
	s_delay_alu instid0(VALU_DEP_2)
	v_fmac_f16_e32 v6, v26, v9
	scratch_load_b32 v26, off, off offset:208 th:TH_LOAD_LU ; 4-byte Folded Reload
	global_store_b32 v[30:31], v0, off
	v_cvt_f32_f16_e32 v6, v6
	v_add_co_u32 v0, s1, v30, s12
	scratch_load_b32 v30, off, off offset:200 th:TH_LOAD_LU ; 4-byte Folded Reload
	s_wait_alu 0xf1ff
	v_add_co_ci_u32_e64 v1, s1, s13, v31, s1
	v_cvt_f64_f32_e32 v[6:7], v6
	scratch_load_b32 v31, off, off offset:192 th:TH_LOAD_LU ; 4-byte Folded Reload
	v_mul_f64_e32 v[6:7], s[10:11], v[6:7]
	s_delay_alu instid0(VALU_DEP_1) | instskip(SKIP_1) | instid1(VALU_DEP_2)
	v_and_or_b32 v6, 0x1ff, v7, v6
	v_lshrrev_b32_e32 v9, 8, v7
	v_cmp_ne_u32_e64 s1, 0, v6
	s_wait_alu 0xf1ff
	s_delay_alu instid0(VALU_DEP_1) | instskip(NEXT) | instid1(VALU_DEP_1)
	v_cndmask_b32_e64 v6, 0, 1, s1
	v_and_or_b32 v6, 0xffe, v9, v6
	v_bfe_u32 v9, v7, 20, 11
	v_lshrrev_b32_e32 v7, 16, v7
	s_delay_alu instid0(VALU_DEP_3) | instskip(NEXT) | instid1(VALU_DEP_3)
	v_or_b32_e32 v14, 0x1000, v6
	v_sub_nc_u32_e32 v10, 0x3f1, v9
	v_add_nc_u32_e32 v9, 0xfffffc10, v9
	s_delay_alu instid0(VALU_DEP_2) | instskip(NEXT) | instid1(VALU_DEP_1)
	v_med3_i32 v10, v10, 0, 13
	v_lshrrev_b32_e32 v16, v10, v14
	s_delay_alu instid0(VALU_DEP_1) | instskip(NEXT) | instid1(VALU_DEP_1)
	v_lshlrev_b32_e32 v10, v10, v16
	v_cmp_ne_u32_e64 s1, v10, v14
	v_lshl_or_b32 v14, v9, 12, v6
	s_wait_alu 0xf1ff
	s_delay_alu instid0(VALU_DEP_2) | instskip(SKIP_1) | instid1(VALU_DEP_2)
	v_cndmask_b32_e64 v10, 0, 1, s1
	v_cmp_gt_i32_e64 s1, 1, v9
	v_or_b32_e32 v10, v16, v10
	s_wait_alu 0xf1ff
	s_delay_alu instid0(VALU_DEP_1) | instskip(NEXT) | instid1(VALU_DEP_1)
	v_cndmask_b32_e64 v10, v14, v10, s1
	v_and_b32_e32 v14, 7, v10
	v_lshrrev_b32_e32 v10, 2, v10
	s_delay_alu instid0(VALU_DEP_2) | instskip(SKIP_4) | instid1(VALU_DEP_4)
	v_cmp_lt_i32_e64 s1, 5, v14
	v_cmp_eq_u32_e64 s2, 3, v14
	v_cndmask_b32_e64 v14, 0, 1, s0
	v_cmp_ne_u32_e64 s0, 0, v6
	v_add_nc_u32_e32 v6, 0xfffffc10, v19
	s_or_b32 s1, s2, s1
	s_delay_alu instid0(VALU_DEP_3)
	v_or_b32_e32 v14, v20, v14
	s_wait_alu 0xfffe
	v_add_co_ci_u32_e64 v10, s1, 0, v10, s1
	v_lshl_or_b32 v16, v6, 12, v18
	v_cmp_gt_i32_e64 s3, 1, v6
	v_cmp_gt_i32_e64 s1, 31, v9
	v_cmp_ne_u32_e64 s2, 0, v18
	s_wait_alu 0xf1ff
	s_delay_alu instid0(VALU_DEP_3) | instskip(SKIP_3) | instid1(VALU_DEP_3)
	v_cndmask_b32_e64 v14, v16, v14, s3
	v_cndmask_b32_e64 v16, 0, 1, s0
	;; [unrolled: 1-line block ×3, first 2 shown]
	v_cmp_eq_u32_e64 s0, 0x40f, v9
	v_lshl_or_b32 v16, v16, 9, 0x7c00
	s_wait_alu 0xf1ff
	s_delay_alu instid0(VALU_DEP_1) | instskip(SKIP_1) | instid1(VALU_DEP_2)
	v_cndmask_b32_e64 v9, v10, v16, s0
	v_and_b32_e32 v10, 7, v14
	v_and_or_b32 v7, 0x8000, v7, v9
	s_delay_alu instid0(VALU_DEP_2) | instskip(SKIP_4) | instid1(VALU_DEP_4)
	v_cmp_lt_i32_e64 s0, 5, v10
	v_cmp_eq_u32_e64 s1, 3, v10
	v_lshrrev_b32_e32 v10, 2, v14
	v_cndmask_b32_e64 v14, 0, 1, s2
	v_and_b32_e32 v7, 0xffff, v7
	s_or_b32 s0, s1, s0
	s_wait_alu 0xfffe
	v_add_co_ci_u32_e64 v10, s0, 0, v10, s0
	v_cmp_gt_i32_e64 s0, 31, v6
	v_lshl_or_b32 v14, v14, 9, 0x7c00
	s_wait_alu 0xf1ff
	s_delay_alu instid0(VALU_DEP_2) | instskip(SKIP_2) | instid1(VALU_DEP_1)
	v_cndmask_b32_e64 v10, 0x7c00, v10, s0
	v_cmp_eq_u32_e64 s0, 0x40f, v6
	s_wait_alu 0xf1ff
	v_cndmask_b32_e64 v6, v10, v14, s0
	v_lshrrev_b32_e32 v10, 16, v13
	v_add_co_u32 v20, s0, v0, s12
	s_wait_alu 0xf1ff
	v_add_co_ci_u32_e64 v21, s0, s13, v1, s0
	s_delay_alu instid0(VALU_DEP_3)
	v_and_or_b32 v6, 0x8000, v10, v6
	ds_load_2addr_b32 v[9:10], v177 offset0:76 offset1:157
	v_lshl_or_b32 v6, v6, 16, v7
	global_store_b32 v[0:1], v6, off
	ds_load_2addr_b32 v[6:7], v176 offset0:136 offset1:217
	s_wait_dscnt 0x0
	v_lshrrev_b32_e32 v25, 16, v7
	s_wait_loadcnt 0x2
	v_mul_f16_e32 v0, v26, v7
	s_delay_alu instid0(VALU_DEP_1) | instskip(NEXT) | instid1(VALU_DEP_1)
	v_fma_f16 v0, v33, v25, -v0
	v_cvt_f32_f16_e32 v0, v0
	s_delay_alu instid0(VALU_DEP_1) | instskip(NEXT) | instid1(VALU_DEP_1)
	v_cvt_f64_f32_e32 v[0:1], v0
	v_mul_f64_e32 v[13:14], s[10:11], v[0:1]
	s_delay_alu instid0(VALU_DEP_1)
	v_and_or_b32 v0, 0x1ff, v14, v13
	v_lshrrev_b32_e32 v1, 8, v14
	v_bfe_u32 v28, v14, 20, 11
	v_lshrrev_b32_e32 v13, 16, v9
	v_lshrrev_b32_e32 v14, 16, v14
	v_cmp_ne_u32_e64 s0, 0, v0
	s_wait_alu 0xf1ff
	s_delay_alu instid0(VALU_DEP_1) | instskip(NEXT) | instid1(VALU_DEP_1)
	v_cndmask_b32_e64 v0, 0, 1, s0
	v_and_or_b32 v27, 0xffe, v1, v0
	v_sub_nc_u32_e32 v0, 0x3f1, v28
	s_delay_alu instid0(VALU_DEP_2) | instskip(NEXT) | instid1(VALU_DEP_2)
	v_or_b32_e32 v1, 0x1000, v27
	v_med3_i32 v0, v0, 0, 13
	s_delay_alu instid0(VALU_DEP_1) | instskip(NEXT) | instid1(VALU_DEP_1)
	v_lshrrev_b32_e32 v29, v0, v1
	v_lshlrev_b32_e32 v0, v0, v29
	s_delay_alu instid0(VALU_DEP_1) | instskip(SKIP_2) | instid1(VALU_DEP_1)
	v_cmp_ne_u32_e64 s2, v0, v1
	s_wait_loadcnt 0x1
	v_mul_f16_e32 v0, v30, v9
	v_fma_f16 v0, v32, v13, -v0
	s_delay_alu instid0(VALU_DEP_1) | instskip(NEXT) | instid1(VALU_DEP_1)
	v_cvt_f32_f16_e32 v0, v0
	v_cvt_f64_f32_e32 v[0:1], v0
	s_delay_alu instid0(VALU_DEP_1) | instskip(NEXT) | instid1(VALU_DEP_1)
	v_mul_f64_e32 v[0:1], s[10:11], v[0:1]
	v_and_or_b32 v0, 0x1ff, v1, v0
	v_lshrrev_b32_e32 v16, 8, v1
	s_delay_alu instid0(VALU_DEP_2) | instskip(SKIP_1) | instid1(VALU_DEP_1)
	v_cmp_ne_u32_e64 s0, 0, v0
	s_wait_alu 0xf1ff
	v_cndmask_b32_e64 v0, 0, 1, s0
	s_delay_alu instid0(VALU_DEP_1) | instskip(SKIP_2) | instid1(VALU_DEP_3)
	v_and_or_b32 v0, 0xffe, v16, v0
	v_bfe_u32 v16, v1, 20, 11
	v_lshrrev_b32_e32 v1, 16, v1
	v_or_b32_e32 v22, 0x1000, v0
	s_delay_alu instid0(VALU_DEP_3) | instskip(NEXT) | instid1(VALU_DEP_1)
	v_sub_nc_u32_e32 v18, 0x3f1, v16
	v_med3_i32 v18, v18, 0, 13
	s_delay_alu instid0(VALU_DEP_1) | instskip(NEXT) | instid1(VALU_DEP_1)
	v_lshrrev_b32_e32 v19, v18, v22
	v_lshlrev_b32_e32 v18, v18, v19
	s_delay_alu instid0(VALU_DEP_1) | instskip(SKIP_1) | instid1(VALU_DEP_1)
	v_cmp_ne_u32_e64 s1, v18, v22
	v_cvt_f64_f32_e32 v[17:18], v11
	v_mul_f64_e32 v[17:18], s[10:11], v[17:18]
	s_delay_alu instid0(VALU_DEP_1) | instskip(SKIP_1) | instid1(VALU_DEP_2)
	v_and_or_b32 v11, 0x1ff, v18, v17
	v_lshrrev_b32_e32 v17, 8, v18
	v_cmp_ne_u32_e64 s0, 0, v11
	s_wait_alu 0xf1ff
	s_delay_alu instid0(VALU_DEP_1) | instskip(NEXT) | instid1(VALU_DEP_1)
	v_cndmask_b32_e64 v11, 0, 1, s0
	v_and_or_b32 v11, 0xffe, v17, v11
	v_bfe_u32 v17, v18, 20, 11
	s_delay_alu instid0(VALU_DEP_2) | instskip(NEXT) | instid1(VALU_DEP_2)
	v_or_b32_e32 v23, 0x1000, v11
	v_sub_nc_u32_e32 v22, 0x3f1, v17
	v_add_nc_u32_e32 v17, 0xfffffc10, v17
	s_delay_alu instid0(VALU_DEP_2) | instskip(NEXT) | instid1(VALU_DEP_1)
	v_med3_i32 v22, v22, 0, 13
	v_lshrrev_b32_e32 v24, v22, v23
	s_delay_alu instid0(VALU_DEP_1) | instskip(NEXT) | instid1(VALU_DEP_1)
	v_lshlrev_b32_e32 v22, v22, v24
	v_cmp_ne_u32_e64 s0, v22, v23
	v_lshl_or_b32 v23, v17, 12, v11
	s_wait_alu 0xf1ff
	s_delay_alu instid0(VALU_DEP_2) | instskip(SKIP_1) | instid1(VALU_DEP_2)
	v_cndmask_b32_e64 v22, 0, 1, s0
	v_cmp_gt_i32_e64 s0, 1, v17
	v_or_b32_e32 v22, v24, v22
	s_wait_alu 0xf1ff
	s_delay_alu instid0(VALU_DEP_1) | instskip(NEXT) | instid1(VALU_DEP_1)
	v_cndmask_b32_e64 v22, v23, v22, s0
	v_and_b32_e32 v23, 7, v22
	s_delay_alu instid0(VALU_DEP_1)
	v_cmp_lt_i32_e64 s0, 5, v23
	v_cmp_eq_u32_e64 s3, 3, v23
	s_wait_alu 0xfffd
	v_cndmask_b32_e64 v23, 0, 1, vcc_lo
	v_cmp_ne_u32_e32 vcc_lo, 0, v11
	v_lshl_or_b32 v11, v5, 12, v3
	s_or_b32 s0, s3, s0
	s_delay_alu instid0(VALU_DEP_3) | instskip(SKIP_2) | instid1(VALU_DEP_3)
	v_or_b32_e32 v15, v15, v23
	v_cmp_ne_u32_e64 s3, 0, v3
	v_lshrrev_b32_e32 v3, 16, v18
	v_cndmask_b32_e64 v11, v11, v15, s4
	v_lshrrev_b32_e32 v15, 2, v22
	s_wait_alu 0xfffd
	v_cndmask_b32_e64 v22, 0, 1, vcc_lo
	v_cmp_eq_u32_e32 vcc_lo, 0x40f, v17
	s_wait_alu 0xfffe
	v_add_co_ci_u32_e64 v15, s0, 0, v15, s0
	v_cmp_gt_i32_e64 s0, 31, v17
	v_lshl_or_b32 v22, v22, 9, 0x7c00
	v_and_b32_e32 v17, 7, v11
	v_lshrrev_b32_e32 v11, 2, v11
	s_wait_alu 0xf1ff
	v_cndmask_b32_e64 v15, 0x7c00, v15, s0
	s_delay_alu instid0(VALU_DEP_3) | instskip(SKIP_1) | instid1(VALU_DEP_2)
	v_cmp_eq_u32_e64 s0, 3, v17
	s_wait_alu 0xfffd
	v_cndmask_b32_e32 v15, v15, v22, vcc_lo
	v_cmp_lt_i32_e32 vcc_lo, 5, v17
	v_cndmask_b32_e64 v17, 0, 1, s3
	s_delay_alu instid0(VALU_DEP_3) | instskip(SKIP_1) | instid1(VALU_DEP_2)
	v_and_or_b32 v3, 0x8000, v3, v15
	s_or_b32 vcc_lo, s0, vcc_lo
	v_lshl_or_b32 v17, v17, 9, 0x7c00
	s_wait_alu 0xfffe
	v_add_co_ci_u32_e32 v11, vcc_lo, 0, v11, vcc_lo
	v_cmp_gt_i32_e32 vcc_lo, 31, v5
	v_and_b32_e32 v3, 0xffff, v3
	s_wait_alu 0xfffd
	s_delay_alu instid0(VALU_DEP_3) | instskip(SKIP_2) | instid1(VALU_DEP_2)
	v_cndmask_b32_e32 v11, 0x7c00, v11, vcc_lo
	v_cmp_eq_u32_e32 vcc_lo, 0x40f, v5
	s_wait_alu 0xfffd
	v_cndmask_b32_e32 v5, v11, v17, vcc_lo
	v_add_co_u32 v23, vcc_lo, v20, s12
	s_wait_alu 0xfffd
	v_add_co_ci_u32_e32 v24, vcc_lo, s13, v21, vcc_lo
	s_delay_alu instid0(VALU_DEP_3) | instskip(NEXT) | instid1(VALU_DEP_1)
	v_and_or_b32 v4, 0x8000, v4, v5
	v_lshl_or_b32 v3, v4, 16, v3
	ds_load_2addr_b32 v[4:5], v172 offset0:110 offset1:191
	global_store_b32 v[20:21], v3, off
	s_wait_dscnt 0x0
	v_lshrrev_b32_e32 v22, 16, v5
	s_wait_loadcnt 0x0
	v_mul_f16_e32 v3, v31, v5
	s_delay_alu instid0(VALU_DEP_1) | instskip(NEXT) | instid1(VALU_DEP_1)
	v_fma_f16 v3, v35, v22, -v3
	v_cvt_f32_f16_e32 v3, v3
	s_delay_alu instid0(VALU_DEP_1) | instskip(NEXT) | instid1(VALU_DEP_1)
	v_cvt_f64_f32_e32 v[17:18], v3
	v_mul_f64_e32 v[17:18], s[10:11], v[17:18]
	s_delay_alu instid0(VALU_DEP_1) | instskip(SKIP_2) | instid1(VALU_DEP_3)
	v_and_or_b32 v3, 0x1ff, v18, v17
	v_lshrrev_b32_e32 v11, 8, v18
	v_bfe_u32 v20, v18, 20, 11
	v_cmp_ne_u32_e32 vcc_lo, 0, v3
	s_wait_alu 0xfffd
	v_cndmask_b32_e64 v3, 0, 1, vcc_lo
	s_delay_alu instid0(VALU_DEP_1) | instskip(SKIP_1) | instid1(VALU_DEP_2)
	v_and_or_b32 v3, 0xffe, v11, v3
	v_sub_nc_u32_e32 v11, 0x3f1, v20
	v_or_b32_e32 v15, 0x1000, v3
	s_delay_alu instid0(VALU_DEP_2) | instskip(NEXT) | instid1(VALU_DEP_1)
	v_med3_i32 v11, v11, 0, 13
	v_lshrrev_b32_e32 v21, v11, v15
	s_delay_alu instid0(VALU_DEP_1) | instskip(NEXT) | instid1(VALU_DEP_1)
	v_lshlrev_b32_e32 v11, v11, v21
	v_cmp_ne_u32_e64 s0, v11, v15
	v_mul_f16_e32 v11, v26, v25
	s_delay_alu instid0(VALU_DEP_1) | instskip(SKIP_2) | instid1(VALU_DEP_1)
	v_fmac_f16_e32 v11, v33, v7
	scratch_load_b32 v33, off, off offset:176 th:TH_LOAD_LU ; 4-byte Folded Reload
	v_cvt_f32_f16_e32 v7, v11
	v_cvt_f64_f32_e32 v[25:26], v7
	s_delay_alu instid0(VALU_DEP_1) | instskip(NEXT) | instid1(VALU_DEP_1)
	v_mul_f64_e32 v[25:26], s[10:11], v[25:26]
	v_and_or_b32 v7, 0x1ff, v26, v25
	v_lshrrev_b32_e32 v11, 8, v26
	s_delay_alu instid0(VALU_DEP_2) | instskip(SKIP_2) | instid1(VALU_DEP_1)
	v_cmp_ne_u32_e32 vcc_lo, 0, v7
	s_wait_alu 0xfffd
	v_cndmask_b32_e64 v7, 0, 1, vcc_lo
	v_and_or_b32 v7, 0xffe, v11, v7
	v_bfe_u32 v11, v26, 20, 11
	s_delay_alu instid0(VALU_DEP_2) | instskip(NEXT) | instid1(VALU_DEP_2)
	v_or_b32_e32 v17, 0x1000, v7
	v_sub_nc_u32_e32 v15, 0x3f1, v11
	v_add_nc_u32_e32 v11, 0xfffffc10, v11
	s_delay_alu instid0(VALU_DEP_2) | instskip(NEXT) | instid1(VALU_DEP_1)
	v_med3_i32 v15, v15, 0, 13
	v_lshrrev_b32_e32 v25, v15, v17
	s_delay_alu instid0(VALU_DEP_1) | instskip(NEXT) | instid1(VALU_DEP_1)
	v_lshlrev_b32_e32 v15, v15, v25
	v_cmp_ne_u32_e32 vcc_lo, v15, v17
	v_lshl_or_b32 v17, v11, 12, v7
	s_wait_alu 0xfffd
	v_cndmask_b32_e64 v15, 0, 1, vcc_lo
	v_cmp_gt_i32_e32 vcc_lo, 1, v11
	s_delay_alu instid0(VALU_DEP_2) | instskip(SKIP_1) | instid1(VALU_DEP_1)
	v_or_b32_e32 v15, v25, v15
	s_wait_alu 0xfffd
	v_cndmask_b32_e32 v15, v17, v15, vcc_lo
	s_delay_alu instid0(VALU_DEP_1) | instskip(SKIP_1) | instid1(VALU_DEP_2)
	v_and_b32_e32 v17, 7, v15
	v_lshrrev_b32_e32 v15, 2, v15
	v_cmp_lt_i32_e32 vcc_lo, 5, v17
	v_cmp_eq_u32_e64 s3, 3, v17
	v_cndmask_b32_e64 v17, 0, 1, s2
	v_cmp_ne_u32_e64 s2, 0, v7
	v_add_nc_u32_e32 v7, 0xfffffc10, v28
	s_delay_alu instid0(VALU_DEP_4) | instskip(NEXT) | instid1(VALU_DEP_3)
	s_or_b32 vcc_lo, s3, vcc_lo
	v_or_b32_e32 v17, v29, v17
	s_wait_alu 0xfffe
	v_add_co_ci_u32_e32 v15, vcc_lo, 0, v15, vcc_lo
	v_lshl_or_b32 v25, v7, 12, v27
	v_cmp_gt_i32_e64 s4, 1, v7
	v_cmp_gt_i32_e32 vcc_lo, 31, v11
	v_cmp_ne_u32_e64 s3, 0, v27
	s_wait_alu 0xf1ff
	s_delay_alu instid0(VALU_DEP_3) | instskip(SKIP_4) | instid1(VALU_DEP_3)
	v_cndmask_b32_e64 v17, v25, v17, s4
	v_cndmask_b32_e64 v25, 0, 1, s2
	s_wait_alu 0xfffd
	v_cndmask_b32_e32 v15, 0x7c00, v15, vcc_lo
	v_cmp_eq_u32_e32 vcc_lo, 0x40f, v11
	v_lshl_or_b32 v25, v25, 9, 0x7c00
	s_wait_alu 0xfffd
	s_delay_alu instid0(VALU_DEP_1) | instskip(SKIP_3) | instid1(VALU_DEP_3)
	v_cndmask_b32_e32 v11, v15, v25, vcc_lo
	v_and_b32_e32 v25, 7, v17
	v_lshrrev_b32_e32 v17, 2, v17
	v_lshrrev_b32_e32 v15, 16, v26
	v_cmp_lt_i32_e32 vcc_lo, 5, v25
	v_cmp_eq_u32_e64 s2, 3, v25
	v_cndmask_b32_e64 v25, 0, 1, s3
	s_delay_alu instid0(VALU_DEP_4) | instskip(NEXT) | instid1(VALU_DEP_3)
	v_and_or_b32 v11, 0x8000, v15, v11
	s_or_b32 vcc_lo, s2, vcc_lo
	s_delay_alu instid0(VALU_DEP_2)
	v_lshl_or_b32 v25, v25, 9, 0x7c00
	s_wait_alu 0xfffe
	v_add_co_ci_u32_e32 v17, vcc_lo, 0, v17, vcc_lo
	v_cmp_gt_i32_e32 vcc_lo, 31, v7
	v_and_b32_e32 v11, 0xffff, v11
	s_wait_alu 0xfffd
	s_delay_alu instid0(VALU_DEP_3) | instskip(SKIP_2) | instid1(VALU_DEP_2)
	v_cndmask_b32_e32 v17, 0x7c00, v17, vcc_lo
	v_cmp_eq_u32_e32 vcc_lo, 0x40f, v7
	s_wait_alu 0xfffd
	v_cndmask_b32_e32 v7, v17, v25, vcc_lo
	s_delay_alu instid0(VALU_DEP_1) | instskip(SKIP_3) | instid1(VALU_DEP_3)
	v_and_or_b32 v7, 0x8000, v14, v7
	v_add_co_u32 v14, vcc_lo, v23, s12
	s_wait_alu 0xfffd
	v_add_co_ci_u32_e32 v15, vcc_lo, s13, v24, vcc_lo
	v_lshl_or_b32 v7, v7, 16, v11
	global_store_b32 v[23:24], v7, off
	v_mul_f16_e32 v7, v30, v13
	s_delay_alu instid0(VALU_DEP_1) | instskip(SKIP_2) | instid1(VALU_DEP_1)
	v_fmac_f16_e32 v7, v32, v9
	scratch_load_b32 v32, off, off offset:184 th:TH_LOAD_LU ; 4-byte Folded Reload
	v_cvt_f32_f16_e32 v7, v7
	v_cvt_f64_f32_e32 v[23:24], v7
	s_delay_alu instid0(VALU_DEP_1) | instskip(NEXT) | instid1(VALU_DEP_1)
	v_mul_f64_e32 v[23:24], s[10:11], v[23:24]
	v_and_or_b32 v7, 0x1ff, v24, v23
	v_lshrrev_b32_e32 v9, 8, v24
	s_delay_alu instid0(VALU_DEP_2) | instskip(SKIP_2) | instid1(VALU_DEP_1)
	v_cmp_ne_u32_e32 vcc_lo, 0, v7
	s_wait_alu 0xfffd
	v_cndmask_b32_e64 v7, 0, 1, vcc_lo
	v_and_or_b32 v7, 0xffe, v9, v7
	v_bfe_u32 v9, v24, 20, 11
	s_delay_alu instid0(VALU_DEP_2) | instskip(NEXT) | instid1(VALU_DEP_2)
	v_or_b32_e32 v13, 0x1000, v7
	v_sub_nc_u32_e32 v11, 0x3f1, v9
	v_add_nc_u32_e32 v9, 0xfffffc10, v9
	s_delay_alu instid0(VALU_DEP_2) | instskip(NEXT) | instid1(VALU_DEP_1)
	v_med3_i32 v11, v11, 0, 13
	v_lshrrev_b32_e32 v17, v11, v13
	s_delay_alu instid0(VALU_DEP_1) | instskip(NEXT) | instid1(VALU_DEP_1)
	v_lshlrev_b32_e32 v11, v11, v17
	v_cmp_ne_u32_e32 vcc_lo, v11, v13
	v_lshl_or_b32 v13, v9, 12, v7
	s_wait_alu 0xfffd
	v_cndmask_b32_e64 v11, 0, 1, vcc_lo
	v_cmp_gt_i32_e32 vcc_lo, 1, v9
	s_delay_alu instid0(VALU_DEP_2) | instskip(SKIP_1) | instid1(VALU_DEP_1)
	v_or_b32_e32 v11, v17, v11
	s_wait_alu 0xfffd
	v_cndmask_b32_e32 v11, v13, v11, vcc_lo
	s_delay_alu instid0(VALU_DEP_1) | instskip(SKIP_1) | instid1(VALU_DEP_2)
	v_and_b32_e32 v13, 7, v11
	v_lshrrev_b32_e32 v11, 2, v11
	v_cmp_lt_i32_e32 vcc_lo, 5, v13
	v_cmp_eq_u32_e64 s2, 3, v13
	v_cndmask_b32_e64 v13, 0, 1, s1
	v_cmp_ne_u32_e64 s1, 0, v7
	v_add_nc_u32_e32 v7, 0xfffffc10, v16
	s_delay_alu instid0(VALU_DEP_4) | instskip(NEXT) | instid1(VALU_DEP_3)
	s_or_b32 vcc_lo, s2, vcc_lo
	v_or_b32_e32 v13, v19, v13
	s_wait_alu 0xfffe
	v_add_co_ci_u32_e32 v11, vcc_lo, 0, v11, vcc_lo
	v_lshl_or_b32 v16, v7, 12, v0
	v_cmp_gt_i32_e64 s3, 1, v7
	v_cmp_gt_i32_e32 vcc_lo, 31, v9
	v_cmp_ne_u32_e64 s2, 0, v0
	v_lshrrev_b32_e32 v0, 16, v24
	s_wait_alu 0xf1ff
	v_cndmask_b32_e64 v13, v16, v13, s3
	v_cndmask_b32_e64 v16, 0, 1, s1
	s_wait_alu 0xfffd
	v_cndmask_b32_e32 v11, 0x7c00, v11, vcc_lo
	v_cmp_eq_u32_e32 vcc_lo, 0x40f, v9
	s_delay_alu instid0(VALU_DEP_3) | instskip(SKIP_1) | instid1(VALU_DEP_1)
	v_lshl_or_b32 v16, v16, 9, 0x7c00
	s_wait_alu 0xfffd
	v_cndmask_b32_e32 v9, v11, v16, vcc_lo
	v_and_b32_e32 v11, 7, v13
	s_delay_alu instid0(VALU_DEP_2) | instskip(NEXT) | instid1(VALU_DEP_2)
	v_and_or_b32 v0, 0x8000, v0, v9
	v_cmp_lt_i32_e32 vcc_lo, 5, v11
	v_cmp_eq_u32_e64 s1, 3, v11
	v_lshrrev_b32_e32 v11, 2, v13
	v_cndmask_b32_e64 v13, 0, 1, s2
	v_and_b32_e32 v0, 0xffff, v0
	s_delay_alu instid0(VALU_DEP_4)
	s_or_b32 vcc_lo, s1, vcc_lo
	s_wait_alu 0xfffe
	v_add_co_ci_u32_e32 v11, vcc_lo, 0, v11, vcc_lo
	v_cmp_gt_i32_e32 vcc_lo, 31, v7
	v_lshl_or_b32 v13, v13, 9, 0x7c00
	s_wait_alu 0xfffd
	s_delay_alu instid0(VALU_DEP_3) | instskip(SKIP_2) | instid1(VALU_DEP_2)
	v_cndmask_b32_e32 v11, 0x7c00, v11, vcc_lo
	v_cmp_eq_u32_e32 vcc_lo, 0x40f, v7
	s_wait_alu 0xfffd
	v_cndmask_b32_e32 v7, v11, v13, vcc_lo
	v_add_co_u32 v25, vcc_lo, v14, s12
	s_wait_alu 0xfffd
	v_add_co_ci_u32_e32 v26, vcc_lo, s13, v15, vcc_lo
	s_delay_alu instid0(VALU_DEP_3) | instskip(NEXT) | instid1(VALU_DEP_1)
	v_and_or_b32 v1, 0x8000, v1, v7
	v_lshl_or_b32 v0, v1, 16, v0
	global_store_b32 v[14:15], v0, off
	ds_load_2addr_b32 v[14:15], v167 offset0:50 offset1:131
	s_wait_dscnt 0x0
	v_lshrrev_b32_e32 v9, 16, v14
	v_mul_f16_e32 v0, v34, v14
	s_wait_loadcnt 0x0
	s_delay_alu instid0(VALU_DEP_1) | instskip(NEXT) | instid1(VALU_DEP_1)
	v_fma_f16 v0, v32, v9, -v0
	v_cvt_f32_f16_e32 v0, v0
	s_delay_alu instid0(VALU_DEP_1) | instskip(NEXT) | instid1(VALU_DEP_1)
	v_cvt_f64_f32_e32 v[0:1], v0
	v_mul_f64_e32 v[27:28], s[10:11], v[0:1]
	s_delay_alu instid0(VALU_DEP_1) | instskip(SKIP_2) | instid1(VALU_DEP_3)
	v_and_or_b32 v0, 0x1ff, v28, v27
	v_lshrrev_b32_e32 v1, 8, v28
	v_bfe_u32 v29, v28, 20, 11
	v_cmp_ne_u32_e32 vcc_lo, 0, v0
	s_wait_alu 0xfffd
	v_cndmask_b32_e64 v0, 0, 1, vcc_lo
	s_delay_alu instid0(VALU_DEP_1) | instskip(SKIP_1) | instid1(VALU_DEP_2)
	v_and_or_b32 v27, 0xffe, v1, v0
	v_sub_nc_u32_e32 v0, 0x3f1, v29
	v_or_b32_e32 v1, 0x1000, v27
	s_delay_alu instid0(VALU_DEP_2) | instskip(NEXT) | instid1(VALU_DEP_1)
	v_med3_i32 v0, v0, 0, 13
	v_lshrrev_b32_e32 v30, v0, v1
	s_delay_alu instid0(VALU_DEP_1) | instskip(NEXT) | instid1(VALU_DEP_1)
	v_lshlrev_b32_e32 v0, v0, v30
	v_cmp_ne_u32_e64 s1, v0, v1
	ds_load_2addr_b32 v[0:1], v166 offset0:84 offset1:165
	s_wait_dscnt 0x0
	v_lshrrev_b32_e32 v7, 16, v1
	v_mul_f16_e32 v11, v37, v1
	s_delay_alu instid0(VALU_DEP_1) | instskip(SKIP_1) | instid1(VALU_DEP_2)
	v_fma_f16 v11, v33, v7, -v11
	v_mul_f16_e32 v7, v37, v7
	v_cvt_f32_f16_e32 v11, v11
	s_delay_alu instid0(VALU_DEP_2) | instskip(NEXT) | instid1(VALU_DEP_2)
	v_fmac_f16_e32 v7, v33, v1
	v_cvt_f64_f32_e32 v[16:17], v11
	s_delay_alu instid0(VALU_DEP_2) | instskip(NEXT) | instid1(VALU_DEP_2)
	v_cvt_f32_f16_e32 v1, v7
	v_mul_f64_e32 v[16:17], s[10:11], v[16:17]
	s_delay_alu instid0(VALU_DEP_1) | instskip(SKIP_2) | instid1(VALU_DEP_3)
	v_and_or_b32 v11, 0x1ff, v17, v16
	v_lshrrev_b32_e32 v13, 8, v17
	v_bfe_u32 v16, v17, 20, 11
	v_cmp_ne_u32_e32 vcc_lo, 0, v11
	s_wait_alu 0xfffd
	v_cndmask_b32_e64 v11, 0, 1, vcc_lo
	s_delay_alu instid0(VALU_DEP_1) | instskip(SKIP_2) | instid1(VALU_DEP_3)
	v_and_or_b32 v11, 0xffe, v13, v11
	v_sub_nc_u32_e32 v13, 0x3f1, v16
	v_add_nc_u32_e32 v16, 0xfffffc10, v16
	v_or_b32_e32 v19, 0x1000, v11
	s_delay_alu instid0(VALU_DEP_3) | instskip(NEXT) | instid1(VALU_DEP_1)
	v_med3_i32 v13, v13, 0, 13
	v_lshrrev_b32_e32 v24, v13, v19
	s_delay_alu instid0(VALU_DEP_1) | instskip(NEXT) | instid1(VALU_DEP_1)
	v_lshlrev_b32_e32 v13, v13, v24
	v_cmp_ne_u32_e32 vcc_lo, v13, v19
	v_mul_f16_e32 v13, v31, v22
	s_delay_alu instid0(VALU_DEP_1) | instskip(NEXT) | instid1(VALU_DEP_1)
	v_fmac_f16_e32 v13, v35, v5
	v_cvt_f32_f16_e32 v5, v13
	s_delay_alu instid0(VALU_DEP_1) | instskip(NEXT) | instid1(VALU_DEP_1)
	v_cvt_f64_f32_e32 v[22:23], v5
	v_mul_f64_e32 v[22:23], s[10:11], v[22:23]
	s_delay_alu instid0(VALU_DEP_1) | instskip(SKIP_1) | instid1(VALU_DEP_2)
	v_and_or_b32 v5, 0x1ff, v23, v22
	v_lshrrev_b32_e32 v13, 8, v23
	v_cmp_ne_u32_e64 s2, 0, v5
	s_wait_alu 0xf1ff
	s_delay_alu instid0(VALU_DEP_1) | instskip(NEXT) | instid1(VALU_DEP_1)
	v_cndmask_b32_e64 v5, 0, 1, s2
	v_and_or_b32 v5, 0xffe, v13, v5
	v_bfe_u32 v13, v23, 20, 11
	s_delay_alu instid0(VALU_DEP_2) | instskip(NEXT) | instid1(VALU_DEP_2)
	v_or_b32_e32 v22, 0x1000, v5
	v_sub_nc_u32_e32 v19, 0x3f1, v13
	v_add_nc_u32_e32 v13, 0xfffffc10, v13
	s_delay_alu instid0(VALU_DEP_2) | instskip(NEXT) | instid1(VALU_DEP_1)
	v_med3_i32 v19, v19, 0, 13
	v_lshrrev_b32_e32 v31, v19, v22
	s_delay_alu instid0(VALU_DEP_1) | instskip(NEXT) | instid1(VALU_DEP_1)
	v_lshlrev_b32_e32 v19, v19, v31
	v_cmp_ne_u32_e64 s2, v19, v22
	v_lshl_or_b32 v22, v13, 12, v5
	s_wait_alu 0xf1ff
	s_delay_alu instid0(VALU_DEP_2) | instskip(SKIP_1) | instid1(VALU_DEP_2)
	v_cndmask_b32_e64 v19, 0, 1, s2
	v_cmp_gt_i32_e64 s2, 1, v13
	v_or_b32_e32 v19, v31, v19
	s_wait_alu 0xf1ff
	s_delay_alu instid0(VALU_DEP_1) | instskip(NEXT) | instid1(VALU_DEP_1)
	v_cndmask_b32_e64 v19, v22, v19, s2
	v_and_b32_e32 v22, 7, v19
	v_lshrrev_b32_e32 v19, 2, v19
	s_delay_alu instid0(VALU_DEP_2) | instskip(SKIP_4) | instid1(VALU_DEP_4)
	v_cmp_lt_i32_e64 s2, 5, v22
	v_cmp_eq_u32_e64 s3, 3, v22
	v_cndmask_b32_e64 v22, 0, 1, s0
	v_cmp_ne_u32_e64 s0, 0, v5
	v_add_nc_u32_e32 v5, 0xfffffc10, v20
	s_or_b32 s2, s3, s2
	s_delay_alu instid0(VALU_DEP_3)
	v_or_b32_e32 v21, v21, v22
	s_wait_alu 0xfffe
	v_add_co_ci_u32_e64 v19, s2, 0, v19, s2
	v_lshl_or_b32 v20, v5, 12, v3
	v_cmp_gt_i32_e64 s4, 1, v5
	v_cmp_gt_i32_e64 s2, 31, v13
	v_cmp_ne_u32_e64 s3, 0, v3
	s_wait_alu 0xf1ff
	s_delay_alu instid0(VALU_DEP_3) | instskip(SKIP_3) | instid1(VALU_DEP_4)
	v_cndmask_b32_e64 v20, v20, v21, s4
	v_cndmask_b32_e64 v21, 0, 1, s0
	;; [unrolled: 1-line block ×3, first 2 shown]
	v_cmp_eq_u32_e64 s0, 0x40f, v13
	v_lshrrev_b32_e32 v3, 2, v20
	s_delay_alu instid0(VALU_DEP_4) | instskip(SKIP_1) | instid1(VALU_DEP_1)
	v_lshl_or_b32 v21, v21, 9, 0x7c00
	s_wait_alu 0xf1ff
	v_cndmask_b32_e64 v13, v19, v21, s0
	v_and_b32_e32 v21, 7, v20
	v_cndmask_b32_e64 v20, 0, 1, s3
	v_lshrrev_b32_e32 v19, 16, v23
	s_delay_alu instid0(VALU_DEP_3) | instskip(SKIP_1) | instid1(VALU_DEP_4)
	v_cmp_lt_i32_e64 s0, 5, v21
	v_cmp_eq_u32_e64 s2, 3, v21
	v_lshl_or_b32 v20, v20, 9, 0x7c00
	s_delay_alu instid0(VALU_DEP_4) | instskip(NEXT) | instid1(VALU_DEP_3)
	v_and_or_b32 v13, 0x8000, v19, v13
	s_or_b32 s0, s2, s0
	s_wait_alu 0xfffe
	v_add_co_ci_u32_e64 v3, s0, 0, v3, s0
	v_cmp_gt_i32_e64 s0, 31, v5
	s_wait_alu 0xf1ff
	s_delay_alu instid0(VALU_DEP_1) | instskip(SKIP_3) | instid1(VALU_DEP_2)
	v_cndmask_b32_e64 v3, 0x7c00, v3, s0
	v_cmp_eq_u32_e64 s0, 0x40f, v5
	v_lshrrev_b32_e32 v5, 16, v18
	s_wait_alu 0xf1ff
	v_cndmask_b32_e64 v3, v3, v20, s0
	v_add_co_u32 v18, s0, v25, s12
	s_wait_alu 0xf1ff
	v_add_co_ci_u32_e64 v19, s0, s13, v26, s0
	s_delay_alu instid0(VALU_DEP_3) | instskip(SKIP_1) | instid1(VALU_DEP_1)
	v_and_or_b32 v3, 0x8000, v5, v3
	v_and_b32_e32 v5, 0xffff, v13
	v_lshl_or_b32 v3, v3, 16, v5
	global_store_b32 v[25:26], v3, off
	v_mul_f16_e32 v3, v34, v9
	s_delay_alu instid0(VALU_DEP_1) | instskip(NEXT) | instid1(VALU_DEP_1)
	v_fmac_f16_e32 v3, v32, v14
	v_cvt_f32_f16_e32 v3, v3
	s_delay_alu instid0(VALU_DEP_1) | instskip(NEXT) | instid1(VALU_DEP_1)
	v_cvt_f64_f32_e32 v[13:14], v3
	v_mul_f64_e32 v[13:14], s[10:11], v[13:14]
	s_delay_alu instid0(VALU_DEP_1) | instskip(SKIP_1) | instid1(VALU_DEP_2)
	v_and_or_b32 v3, 0x1ff, v14, v13
	v_lshrrev_b32_e32 v5, 8, v14
	v_cmp_ne_u32_e64 s0, 0, v3
	s_wait_alu 0xf1ff
	s_delay_alu instid0(VALU_DEP_1) | instskip(NEXT) | instid1(VALU_DEP_1)
	v_cndmask_b32_e64 v3, 0, 1, s0
	v_and_or_b32 v3, 0xffe, v5, v3
	v_bfe_u32 v5, v14, 20, 11
	s_delay_alu instid0(VALU_DEP_2) | instskip(NEXT) | instid1(VALU_DEP_2)
	v_or_b32_e32 v13, 0x1000, v3
	v_sub_nc_u32_e32 v9, 0x3f1, v5
	v_add_nc_u32_e32 v5, 0xfffffc10, v5
	v_cmp_ne_u32_e64 s2, 0, v3
	s_delay_alu instid0(VALU_DEP_3) | instskip(NEXT) | instid1(VALU_DEP_1)
	v_med3_i32 v9, v9, 0, 13
	v_lshrrev_b32_e32 v20, v9, v13
	s_delay_alu instid0(VALU_DEP_1) | instskip(NEXT) | instid1(VALU_DEP_1)
	v_lshlrev_b32_e32 v9, v9, v20
	v_cmp_ne_u32_e64 s0, v9, v13
	v_lshl_or_b32 v13, v5, 12, v3
	s_wait_alu 0xf1ff
	s_delay_alu instid0(VALU_DEP_2) | instskip(SKIP_1) | instid1(VALU_DEP_2)
	v_cndmask_b32_e64 v9, 0, 1, s0
	v_cmp_gt_i32_e64 s0, 1, v5
	v_or_b32_e32 v9, v20, v9
	v_add_nc_u32_e32 v20, 0xfffffc10, v29
	s_wait_alu 0xf1ff
	s_delay_alu instid0(VALU_DEP_2) | instskip(SKIP_1) | instid1(VALU_DEP_3)
	v_cndmask_b32_e64 v9, v13, v9, s0
	v_cndmask_b32_e64 v13, 0, 1, s1
	v_lshl_or_b32 v21, v20, 12, v27
	v_cmp_gt_i32_e64 s0, 1, v20
	s_delay_alu instid0(VALU_DEP_3) | instskip(SKIP_1) | instid1(VALU_DEP_1)
	v_or_b32_e32 v13, v30, v13
	s_wait_alu 0xf1ff
	v_cndmask_b32_e64 v13, v21, v13, s0
	v_and_b32_e32 v21, 7, v9
	s_delay_alu instid0(VALU_DEP_2) | instskip(NEXT) | instid1(VALU_DEP_2)
	v_and_b32_e32 v3, 7, v13
	v_cmp_lt_i32_e64 s0, 5, v21
	v_cmp_eq_u32_e64 s1, 3, v21
	s_delay_alu instid0(VALU_DEP_3) | instskip(SKIP_2) | instid1(VALU_DEP_4)
	v_cmp_lt_i32_e64 s3, 5, v3
	v_cmp_eq_u32_e64 s4, 3, v3
	v_lshrrev_b32_e32 v3, 2, v9
	s_or_b32 s0, s1, s0
	v_cndmask_b32_e64 v9, 0, 1, s2
	s_delay_alu instid0(VALU_DEP_3)
	s_or_b32 s1, s4, s3
	s_wait_alu 0xfffe
	v_add_co_ci_u32_e64 v3, s0, 0, v3, s0
	v_cmp_gt_i32_e64 s0, 31, v5
	v_lshl_or_b32 v9, v9, 9, 0x7c00
	s_wait_alu 0xf1ff
	s_delay_alu instid0(VALU_DEP_2) | instskip(SKIP_3) | instid1(VALU_DEP_2)
	v_cndmask_b32_e64 v3, 0x7c00, v3, s0
	v_cmp_eq_u32_e64 s0, 0x40f, v5
	v_lshrrev_b32_e32 v5, 16, v14
	s_wait_alu 0xf1ff
	v_cndmask_b32_e64 v3, v3, v9, s0
	v_lshrrev_b32_e32 v9, 2, v13
	v_cmp_ne_u32_e64 s0, 0, v27
	s_delay_alu instid0(VALU_DEP_3) | instskip(NEXT) | instid1(VALU_DEP_3)
	v_and_or_b32 v3, 0x8000, v5, v3
	v_add_co_ci_u32_e64 v9, s1, 0, v9, s1
	v_cmp_gt_i32_e64 s1, 31, v20
	s_wait_alu 0xf1ff
	v_cndmask_b32_e64 v13, 0, 1, s0
	v_cmp_eq_u32_e64 s0, 0x40f, v20
	v_and_b32_e32 v3, 0xffff, v3
	v_cndmask_b32_e64 v9, 0x7c00, v9, s1
	s_delay_alu instid0(VALU_DEP_4) | instskip(SKIP_1) | instid1(VALU_DEP_1)
	v_lshl_or_b32 v13, v13, 9, 0x7c00
	s_wait_alu 0xf1ff
	v_cndmask_b32_e64 v9, v9, v13, s0
	v_lshrrev_b32_e32 v13, 16, v28
	v_add_co_u32 v28, s0, v18, s12
	s_wait_alu 0xf1ff
	v_add_co_ci_u32_e64 v29, s0, s13, v19, s0
	s_delay_alu instid0(VALU_DEP_3)
	v_and_or_b32 v5, 0x8000, v13, v9
	ds_load_2addr_b32 v[13:14], v162 offset0:152 offset1:233
	v_lshl_or_b32 v3, v5, 16, v3
	global_store_b32 v[18:19], v3, off
	s_wait_dscnt 0x0
	v_lshrrev_b32_e32 v5, 16, v13
	v_mul_f16_e32 v3, v41, v13
	s_delay_alu instid0(VALU_DEP_1) | instskip(NEXT) | instid1(VALU_DEP_1)
	v_fma_f16 v3, v38, v5, -v3
	v_cvt_f32_f16_e32 v3, v3
	s_delay_alu instid0(VALU_DEP_1) | instskip(NEXT) | instid1(VALU_DEP_1)
	v_cvt_f64_f32_e32 v[18:19], v3
	v_mul_f64_e32 v[30:31], s[10:11], v[18:19]
	scratch_load_b32 v18, off, off offset:160 th:TH_LOAD_LU ; 4-byte Folded Reload
	v_and_or_b32 v3, 0x1ff, v31, v30
	v_lshrrev_b32_e32 v9, 8, v31
	v_bfe_u32 v34, v31, 20, 11
	s_delay_alu instid0(VALU_DEP_3) | instskip(SKIP_1) | instid1(VALU_DEP_1)
	v_cmp_ne_u32_e64 s0, 0, v3
	s_wait_alu 0xf1ff
	v_cndmask_b32_e64 v3, 0, 1, s0
	s_delay_alu instid0(VALU_DEP_1) | instskip(SKIP_1) | instid1(VALU_DEP_2)
	v_and_or_b32 v30, 0xffe, v9, v3
	v_sub_nc_u32_e32 v3, 0x3f1, v34
	v_or_b32_e32 v9, 0x1000, v30
	s_delay_alu instid0(VALU_DEP_2) | instskip(NEXT) | instid1(VALU_DEP_1)
	v_med3_i32 v3, v3, 0, 13
	v_lshrrev_b32_e32 v35, v3, v9
	s_delay_alu instid0(VALU_DEP_1) | instskip(NEXT) | instid1(VALU_DEP_1)
	v_lshlrev_b32_e32 v3, v3, v35
	v_cmp_ne_u32_e64 s3, v3, v9
	scratch_load_b32 v9, off, off offset:164 th:TH_LOAD_LU ; 4-byte Folded Reload
	v_lshrrev_b32_e32 v3, 16, v2
	s_wait_loadcnt 0x0
	s_delay_alu instid0(VALU_DEP_1) | instskip(SKIP_1) | instid1(VALU_DEP_2)
	v_mul_f16_e32 v20, v9, v3
	v_mul_f16_e32 v9, v9, v2
	v_fmac_f16_e32 v20, v18, v2
	s_delay_alu instid0(VALU_DEP_2) | instskip(SKIP_4) | instid1(VALU_DEP_1)
	v_fma_f16 v36, v18, v3, -v9
	ds_load_2addr_b32 v[2:3], v169 offset0:58 offset1:139
	s_wait_dscnt 0x0
	v_lshrrev_b32_e32 v27, 16, v3
	v_mul_f16_e32 v9, v40, v3
	v_fma_f16 v9, v39, v27, -v9
	v_mul_f16_e32 v27, v40, v27
	scratch_load_b32 v40, off, off offset:76 th:TH_LOAD_LU ; 4-byte Folded Reload
	v_cvt_f32_f16_e32 v9, v9
	v_fmac_f16_e32 v27, v39, v3
	scratch_load_b32 v39, off, off offset:72 th:TH_LOAD_LU ; 4-byte Folded Reload
	v_cvt_f64_f32_e32 v[18:19], v9
	v_cvt_f32_f16_e32 v3, v27
	s_delay_alu instid0(VALU_DEP_2) | instskip(NEXT) | instid1(VALU_DEP_1)
	v_mul_f64_e32 v[18:19], s[10:11], v[18:19]
	v_and_or_b32 v9, 0x1ff, v19, v18
	v_lshrrev_b32_e32 v18, 8, v19
	v_bfe_u32 v22, v19, 20, 11
	v_lshrrev_b32_e32 v19, 16, v19
	s_delay_alu instid0(VALU_DEP_4) | instskip(SKIP_1) | instid1(VALU_DEP_1)
	v_cmp_ne_u32_e64 s0, 0, v9
	s_wait_alu 0xf1ff
	v_cndmask_b32_e64 v9, 0, 1, s0
	s_delay_alu instid0(VALU_DEP_1) | instskip(SKIP_2) | instid1(VALU_DEP_3)
	v_and_or_b32 v9, 0xffe, v18, v9
	v_sub_nc_u32_e32 v18, 0x3f1, v22
	v_add_nc_u32_e32 v22, 0xfffffc10, v22
	v_or_b32_e32 v21, 0x1000, v9
	s_delay_alu instid0(VALU_DEP_3) | instskip(NEXT) | instid1(VALU_DEP_1)
	v_med3_i32 v18, v18, 0, 13
	v_lshrrev_b32_e32 v23, v18, v21
	s_delay_alu instid0(VALU_DEP_1) | instskip(NEXT) | instid1(VALU_DEP_1)
	v_lshlrev_b32_e32 v18, v18, v23
	v_cmp_ne_u32_e64 s0, v18, v21
	v_cvt_f32_f16_e32 v18, v20
	s_delay_alu instid0(VALU_DEP_1) | instskip(NEXT) | instid1(VALU_DEP_1)
	v_cvt_f64_f32_e32 v[20:21], v18
	v_mul_f64_e32 v[20:21], s[10:11], v[20:21]
	s_delay_alu instid0(VALU_DEP_1) | instskip(SKIP_3) | instid1(VALU_DEP_4)
	v_and_or_b32 v18, 0x1ff, v21, v20
	v_lshrrev_b32_e32 v20, 8, v21
	v_bfe_u32 v25, v21, 20, 11
	v_lshrrev_b32_e32 v21, 16, v21
	v_cmp_ne_u32_e64 s1, 0, v18
	s_wait_alu 0xf1ff
	s_delay_alu instid0(VALU_DEP_1) | instskip(NEXT) | instid1(VALU_DEP_1)
	v_cndmask_b32_e64 v18, 0, 1, s1
	v_and_or_b32 v20, 0xffe, v20, v18
	v_sub_nc_u32_e32 v18, 0x3f1, v25
	s_delay_alu instid0(VALU_DEP_2) | instskip(NEXT) | instid1(VALU_DEP_2)
	v_or_b32_e32 v32, 0x1000, v20
	v_med3_i32 v18, v18, 0, 13
	s_delay_alu instid0(VALU_DEP_1) | instskip(NEXT) | instid1(VALU_DEP_1)
	v_lshrrev_b32_e32 v26, v18, v32
	v_lshlrev_b32_e32 v18, v18, v26
	s_delay_alu instid0(VALU_DEP_1) | instskip(SKIP_1) | instid1(VALU_DEP_1)
	v_cmp_ne_u32_e64 s1, v18, v32
	v_cvt_f64_f32_e32 v[32:33], v1
	v_mul_f64_e32 v[32:33], s[10:11], v[32:33]
	s_delay_alu instid0(VALU_DEP_1) | instskip(SKIP_1) | instid1(VALU_DEP_2)
	v_and_or_b32 v1, 0x1ff, v33, v32
	v_lshrrev_b32_e32 v7, 8, v33
	v_cmp_ne_u32_e64 s2, 0, v1
	s_wait_alu 0xf1ff
	s_delay_alu instid0(VALU_DEP_1) | instskip(NEXT) | instid1(VALU_DEP_1)
	v_cndmask_b32_e64 v1, 0, 1, s2
	v_and_or_b32 v1, 0xffe, v7, v1
	v_bfe_u32 v7, v33, 20, 11
	s_delay_alu instid0(VALU_DEP_2) | instskip(NEXT) | instid1(VALU_DEP_2)
	v_or_b32_e32 v32, 0x1000, v1
	v_sub_nc_u32_e32 v18, 0x3f1, v7
	v_add_nc_u32_e32 v7, 0xfffffc10, v7
	v_cmp_ne_u32_e64 s5, 0, v1
	s_delay_alu instid0(VALU_DEP_3) | instskip(NEXT) | instid1(VALU_DEP_1)
	v_med3_i32 v18, v18, 0, 13
	v_lshrrev_b32_e32 v37, v18, v32
	s_delay_alu instid0(VALU_DEP_1) | instskip(NEXT) | instid1(VALU_DEP_1)
	v_lshlrev_b32_e32 v18, v18, v37
	v_cmp_ne_u32_e64 s2, v18, v32
	v_lshl_or_b32 v32, v7, 12, v1
	s_wait_alu 0xfffd
	v_cndmask_b32_e64 v1, 0, 1, vcc_lo
	v_cmp_gt_i32_e32 vcc_lo, 1, v16
	s_wait_alu 0xf1ff
	v_cndmask_b32_e64 v18, 0, 1, s2
	v_cmp_gt_i32_e64 s2, 1, v7
	v_or_b32_e32 v1, v24, v1
	v_lshl_or_b32 v24, v16, 12, v11
	s_delay_alu instid0(VALU_DEP_4)
	v_or_b32_e32 v18, v37, v18
	scratch_load_b32 v37, off, off offset:136 th:TH_LOAD_LU ; 4-byte Folded Reload
	s_wait_alu 0xfffd
	v_cndmask_b32_e32 v1, v24, v1, vcc_lo
	v_cndmask_b32_e64 v24, 0, 1, s5
	s_wait_alu 0xf1ff
	v_cndmask_b32_e64 v18, v32, v18, s2
	s_delay_alu instid0(VALU_DEP_2) | instskip(NEXT) | instid1(VALU_DEP_2)
	v_lshl_or_b32 v24, v24, 9, 0x7c00
	v_and_b32_e32 v32, 7, v18
	v_lshrrev_b32_e32 v18, 2, v18
	s_delay_alu instid0(VALU_DEP_2) | instskip(SKIP_1) | instid1(VALU_DEP_1)
	v_cmp_lt_i32_e64 s2, 5, v32
	v_cmp_eq_u32_e64 s4, 3, v32
	s_or_b32 vcc_lo, s4, s2
	v_cmp_ne_u32_e64 s4, 0, v11
	s_wait_alu 0xfffe
	v_add_co_ci_u32_e32 v18, vcc_lo, 0, v18, vcc_lo
	v_cmp_gt_i32_e32 vcc_lo, 31, v7
	s_wait_alu 0xf1ff
	v_cndmask_b32_e64 v11, 0, 1, s4
	s_wait_alu 0xfffd
	v_cndmask_b32_e32 v18, 0x7c00, v18, vcc_lo
	v_cmp_eq_u32_e32 vcc_lo, 0x40f, v7
	s_delay_alu instid0(VALU_DEP_3) | instskip(SKIP_1) | instid1(VALU_DEP_3)
	v_lshl_or_b32 v11, v11, 9, 0x7c00
	s_wait_alu 0xfffd
	v_dual_cndmask_b32 v7, v18, v24 :: v_dual_and_b32 v24, 7, v1
	v_lshrrev_b32_e32 v1, 2, v1
	v_lshrrev_b32_e32 v18, 16, v33
	s_delay_alu instid0(VALU_DEP_3) | instskip(SKIP_1) | instid1(VALU_DEP_3)
	v_cmp_lt_i32_e32 vcc_lo, 5, v24
	v_cmp_eq_u32_e64 s2, 3, v24
	v_and_or_b32 v7, 0x8000, v18, v7
	s_delay_alu instid0(VALU_DEP_2) | instskip(NEXT) | instid1(VALU_DEP_1)
	s_or_b32 vcc_lo, s2, vcc_lo
	v_and_b32_e32 v7, 0xffff, v7
	s_wait_alu 0xfffe
	v_add_co_ci_u32_e32 v1, vcc_lo, 0, v1, vcc_lo
	v_cmp_gt_i32_e32 vcc_lo, 31, v16
	s_wait_alu 0xfffd
	s_delay_alu instid0(VALU_DEP_2) | instskip(SKIP_2) | instid1(VALU_DEP_2)
	v_cndmask_b32_e32 v1, 0x7c00, v1, vcc_lo
	v_cmp_eq_u32_e32 vcc_lo, 0x40f, v16
	s_wait_alu 0xfffd
	v_cndmask_b32_e32 v1, v1, v11, vcc_lo
	v_lshrrev_b32_e32 v11, 16, v17
	s_delay_alu instid0(VALU_DEP_1) | instskip(NEXT) | instid1(VALU_DEP_1)
	v_and_or_b32 v1, 0x8000, v11, v1
	v_lshl_or_b32 v1, v1, 16, v7
	global_store_b32 v[28:29], v1, off
	v_cvt_f32_f16_e32 v1, v36
	v_add_co_u32 v28, vcc_lo, v28, s12
	s_wait_alu 0xfffd
	v_add_co_ci_u32_e32 v29, vcc_lo, s13, v29, vcc_lo
	s_delay_alu instid0(VALU_DEP_3) | instskip(NEXT) | instid1(VALU_DEP_1)
	v_cvt_f64_f32_e32 v[16:17], v1
	v_mul_f64_e32 v[17:18], s[10:11], v[16:17]
	s_delay_alu instid0(VALU_DEP_1) | instskip(SKIP_3) | instid1(VALU_DEP_4)
	v_and_or_b32 v1, 0x1ff, v18, v17
	v_lshrrev_b32_e32 v7, 8, v18
	v_bfe_u32 v33, v18, 20, 11
	v_lshrrev_b32_e32 v18, 16, v18
	v_cmp_ne_u32_e32 vcc_lo, 0, v1
	s_wait_alu 0xfffd
	v_cndmask_b32_e64 v1, 0, 1, vcc_lo
	s_delay_alu instid0(VALU_DEP_1) | instskip(SKIP_1) | instid1(VALU_DEP_2)
	v_and_or_b32 v32, 0xffe, v7, v1
	v_sub_nc_u32_e32 v1, 0x3f1, v33
	v_or_b32_e32 v7, 0x1000, v32
	s_delay_alu instid0(VALU_DEP_2) | instskip(NEXT) | instid1(VALU_DEP_1)
	v_med3_i32 v1, v1, 0, 13
	v_lshrrev_b32_e32 v36, v1, v7
	s_delay_alu instid0(VALU_DEP_1) | instskip(NEXT) | instid1(VALU_DEP_1)
	v_lshlrev_b32_e32 v1, v1, v36
	v_cmp_ne_u32_e64 s2, v1, v7
	v_mul_f16_e32 v1, v41, v5
	s_delay_alu instid0(VALU_DEP_1) | instskip(SKIP_2) | instid1(VALU_DEP_1)
	v_fmac_f16_e32 v1, v38, v13
	scratch_load_b32 v38, off, off offset:140 th:TH_LOAD_LU ; 4-byte Folded Reload
	v_cvt_f32_f16_e32 v1, v1
	v_cvt_f64_f32_e32 v[16:17], v1
	s_delay_alu instid0(VALU_DEP_1) | instskip(NEXT) | instid1(VALU_DEP_1)
	v_mul_f64_e32 v[16:17], s[10:11], v[16:17]
	v_and_or_b32 v1, 0x1ff, v17, v16
	v_lshrrev_b32_e32 v5, 8, v17
	s_delay_alu instid0(VALU_DEP_2) | instskip(SKIP_2) | instid1(VALU_DEP_1)
	v_cmp_ne_u32_e32 vcc_lo, 0, v1
	s_wait_alu 0xfffd
	v_cndmask_b32_e64 v1, 0, 1, vcc_lo
	v_and_or_b32 v1, 0xffe, v5, v1
	v_bfe_u32 v5, v17, 20, 11
	s_delay_alu instid0(VALU_DEP_2) | instskip(NEXT) | instid1(VALU_DEP_2)
	v_or_b32_e32 v11, 0x1000, v1
	v_sub_nc_u32_e32 v7, 0x3f1, v5
	v_add_nc_u32_e32 v5, 0xfffffc10, v5
	v_cmp_ne_u32_e64 s5, 0, v1
	s_delay_alu instid0(VALU_DEP_3) | instskip(NEXT) | instid1(VALU_DEP_1)
	v_med3_i32 v7, v7, 0, 13
	v_lshrrev_b32_e32 v13, v7, v11
	s_delay_alu instid0(VALU_DEP_1) | instskip(NEXT) | instid1(VALU_DEP_1)
	v_lshlrev_b32_e32 v7, v7, v13
	v_cmp_ne_u32_e32 vcc_lo, v7, v11
	v_lshl_or_b32 v11, v5, 12, v1
	v_cndmask_b32_e64 v1, 0, 1, s3
	s_wait_alu 0xfffd
	v_cndmask_b32_e64 v7, 0, 1, vcc_lo
	v_cmp_gt_i32_e32 vcc_lo, 1, v5
	s_delay_alu instid0(VALU_DEP_3) | instskip(NEXT) | instid1(VALU_DEP_3)
	v_or_b32_e32 v1, v35, v1
	v_or_b32_e32 v7, v13, v7
	s_wait_alu 0xfffd
	s_delay_alu instid0(VALU_DEP_1) | instskip(NEXT) | instid1(VALU_DEP_1)
	v_cndmask_b32_e32 v7, v11, v7, vcc_lo
	v_and_b32_e32 v11, 7, v7
	v_lshrrev_b32_e32 v7, 2, v7
	s_delay_alu instid0(VALU_DEP_2) | instskip(SKIP_2) | instid1(VALU_DEP_2)
	v_cmp_lt_i32_e32 vcc_lo, 5, v11
	v_cmp_eq_u32_e64 s4, 3, v11
	v_add_nc_u32_e32 v11, 0xfffffc10, v34
	s_or_b32 vcc_lo, s4, vcc_lo
	s_delay_alu instid0(VALU_DEP_1)
	v_lshl_or_b32 v13, v11, 12, v30
	v_cmp_gt_i32_e64 s3, 1, v11
	s_wait_alu 0xfffe
	v_add_co_ci_u32_e32 v7, vcc_lo, 0, v7, vcc_lo
	v_cmp_gt_i32_e32 vcc_lo, 31, v5
	v_cmp_ne_u32_e64 s4, 0, v30
	s_wait_alu 0xf1ff
	v_cndmask_b32_e64 v1, v13, v1, s3
	v_cndmask_b32_e64 v13, 0, 1, s5
	s_wait_alu 0xfffd
	v_cndmask_b32_e32 v7, 0x7c00, v7, vcc_lo
	v_cmp_eq_u32_e32 vcc_lo, 0x40f, v5
	s_delay_alu instid0(VALU_DEP_3) | instskip(SKIP_1) | instid1(VALU_DEP_1)
	v_lshl_or_b32 v13, v13, 9, 0x7c00
	s_wait_alu 0xfffd
	v_cndmask_b32_e32 v5, v7, v13, vcc_lo
	v_and_b32_e32 v13, 7, v1
	v_lshrrev_b32_e32 v1, 2, v1
	v_lshrrev_b32_e32 v7, 16, v17
	s_delay_alu instid0(VALU_DEP_3) | instskip(SKIP_2) | instid1(VALU_DEP_4)
	v_cmp_lt_i32_e32 vcc_lo, 5, v13
	v_cmp_eq_u32_e64 s3, 3, v13
	v_cndmask_b32_e64 v13, 0, 1, s4
	v_and_or_b32 v5, 0x8000, v7, v5
	scratch_load_b32 v7, off, off offset:148 th:TH_LOAD_LU ; 4-byte Folded Reload
	s_or_b32 vcc_lo, s3, vcc_lo
	v_lshl_or_b32 v13, v13, 9, 0x7c00
	s_wait_alu 0xfffe
	v_add_co_ci_u32_e32 v1, vcc_lo, 0, v1, vcc_lo
	v_cmp_gt_i32_e32 vcc_lo, 31, v11
	v_and_b32_e32 v5, 0xffff, v5
	s_wait_alu 0xfffd
	s_delay_alu instid0(VALU_DEP_3) | instskip(SKIP_3) | instid1(VALU_DEP_3)
	v_cndmask_b32_e32 v1, 0x7c00, v1, vcc_lo
	v_cmp_eq_u32_e32 vcc_lo, 0x40f, v11
	v_lshrrev_b32_e32 v11, 16, v31
	s_wait_alu 0xfffd
	v_cndmask_b32_e32 v1, v1, v13, vcc_lo
	s_delay_alu instid0(VALU_DEP_1)
	v_and_or_b32 v1, 0x8000, v11, v1
	scratch_load_b32 v11, off, off offset:144 th:TH_LOAD_LU ; 4-byte Folded Reload
	v_lshl_or_b32 v1, v1, 16, v5
	global_store_b32 v[28:29], v1, off
	v_lshrrev_b32_e32 v1, 16, v12
	v_add_co_u32 v28, vcc_lo, v28, s12
	s_wait_alu 0xfffd
	v_add_co_ci_u32_e32 v29, vcc_lo, s13, v29, vcc_lo
	s_wait_loadcnt 0x1
	v_mul_f16_e32 v5, v7, v1
	v_mul_f16_e32 v7, v7, v12
	s_wait_loadcnt 0x0
	s_delay_alu instid0(VALU_DEP_2) | instskip(NEXT) | instid1(VALU_DEP_2)
	v_fmac_f16_e32 v5, v11, v12
	v_fma_f16 v24, v11, v1, -v7
	ds_load_2addr_b32 v[11:12], v150 offset0:68 offset1:149
	v_cvt_f32_f16_e32 v5, v5
	s_wait_dscnt 0x0
	v_lshrrev_b32_e32 v13, 16, v11
	v_mul_f16_e32 v1, v38, v11
	s_delay_alu instid0(VALU_DEP_1) | instskip(NEXT) | instid1(VALU_DEP_1)
	v_fma_f16 v1, v37, v13, -v1
	v_cvt_f32_f16_e32 v1, v1
	s_delay_alu instid0(VALU_DEP_1) | instskip(NEXT) | instid1(VALU_DEP_1)
	v_cvt_f64_f32_e32 v[16:17], v1
	v_mul_f64_e32 v[16:17], s[10:11], v[16:17]
	s_delay_alu instid0(VALU_DEP_1) | instskip(SKIP_1) | instid1(VALU_DEP_2)
	v_and_or_b32 v1, 0x1ff, v17, v16
	v_lshrrev_b32_e32 v7, 8, v17
	v_cmp_ne_u32_e32 vcc_lo, 0, v1
	s_wait_alu 0xfffd
	v_cndmask_b32_e64 v1, 0, 1, vcc_lo
	s_delay_alu instid0(VALU_DEP_1) | instskip(SKIP_1) | instid1(VALU_DEP_2)
	v_and_or_b32 v1, 0xffe, v7, v1
	v_bfe_u32 v7, v17, 20, 11
	v_or_b32_e32 v31, 0x1000, v1
	s_delay_alu instid0(VALU_DEP_2) | instskip(SKIP_1) | instid1(VALU_DEP_2)
	v_sub_nc_u32_e32 v16, 0x3f1, v7
	v_add_nc_u32_e32 v7, 0xfffffc10, v7
	v_med3_i32 v30, v16, 0, 13
	s_delay_alu instid0(VALU_DEP_1) | instskip(NEXT) | instid1(VALU_DEP_1)
	v_lshrrev_b32_e32 v16, v30, v31
	v_lshlrev_b32_e32 v30, v30, v16
	s_delay_alu instid0(VALU_DEP_1) | instskip(SKIP_1) | instid1(VALU_DEP_1)
	v_cmp_ne_u32_e32 vcc_lo, v30, v31
	v_cvt_f64_f32_e32 v[30:31], v3
	v_mul_f64_e32 v[30:31], s[10:11], v[30:31]
	s_delay_alu instid0(VALU_DEP_1) | instskip(SKIP_1) | instid1(VALU_DEP_2)
	v_and_or_b32 v3, 0x1ff, v31, v30
	v_lshrrev_b32_e32 v27, 8, v31
	v_cmp_ne_u32_e64 s3, 0, v3
	s_wait_alu 0xf1ff
	s_delay_alu instid0(VALU_DEP_1) | instskip(NEXT) | instid1(VALU_DEP_1)
	v_cndmask_b32_e64 v3, 0, 1, s3
	v_and_or_b32 v3, 0xffe, v27, v3
	v_bfe_u32 v27, v31, 20, 11
	s_delay_alu instid0(VALU_DEP_2) | instskip(NEXT) | instid1(VALU_DEP_2)
	v_or_b32_e32 v34, 0x1000, v3
	v_sub_nc_u32_e32 v30, 0x3f1, v27
	v_add_nc_u32_e32 v27, 0xfffffc10, v27
	v_cmp_ne_u32_e64 s5, 0, v3
	s_delay_alu instid0(VALU_DEP_3) | instskip(NEXT) | instid1(VALU_DEP_1)
	v_med3_i32 v30, v30, 0, 13
	v_lshrrev_b32_e32 v35, v30, v34
	s_delay_alu instid0(VALU_DEP_1) | instskip(NEXT) | instid1(VALU_DEP_1)
	v_lshlrev_b32_e32 v30, v30, v35
	v_cmp_ne_u32_e64 s3, v30, v34
	v_lshl_or_b32 v34, v27, 12, v3
	v_cndmask_b32_e64 v3, 0, 1, s0
	v_cmp_gt_i32_e64 s0, 1, v22
	s_wait_alu 0xf1ff
	v_cndmask_b32_e64 v30, 0, 1, s3
	v_cmp_gt_i32_e64 s3, 1, v27
	v_or_b32_e32 v3, v23, v3
	v_lshl_or_b32 v23, v22, 12, v9
	s_delay_alu instid0(VALU_DEP_4) | instskip(SKIP_4) | instid1(VALU_DEP_1)
	v_or_b32_e32 v30, v35, v30
	scratch_load_b32 v35, off, off offset:108 th:TH_LOAD_LU ; 4-byte Folded Reload
	v_cndmask_b32_e64 v3, v23, v3, s0
	s_wait_alu 0xf1ff
	v_cndmask_b32_e64 v30, v34, v30, s3
	v_and_b32_e32 v34, 7, v30
	v_lshrrev_b32_e32 v23, 2, v30
	v_cndmask_b32_e64 v30, 0, 1, s5
	s_delay_alu instid0(VALU_DEP_3) | instskip(SKIP_1) | instid1(VALU_DEP_3)
	v_cmp_lt_i32_e64 s3, 5, v34
	v_cmp_eq_u32_e64 s4, 3, v34
	v_lshl_or_b32 v30, v30, 9, 0x7c00
	scratch_load_b32 v34, off, off offset:104 th:TH_LOAD_LU ; 4-byte Folded Reload
	s_or_b32 s0, s4, s3
	v_cmp_ne_u32_e64 s4, 0, v9
	s_wait_alu 0xfffe
	v_add_co_ci_u32_e64 v23, s0, 0, v23, s0
	v_cmp_gt_i32_e64 s0, 31, v27
	v_cndmask_b32_e64 v9, 0, 1, s1
	s_wait_alu 0xf1ff
	s_delay_alu instid0(VALU_DEP_2)
	v_cndmask_b32_e64 v23, 0x7c00, v23, s0
	v_cmp_eq_u32_e64 s0, 0x40f, v27
	v_and_b32_e32 v27, 7, v3
	v_lshrrev_b32_e32 v3, 2, v3
	v_or_b32_e32 v9, v26, v9
	v_cndmask_b32_e64 v26, 0, 1, s4
	s_wait_alu 0xf1ff
	v_cndmask_b32_e64 v23, v23, v30, s0
	v_cmp_lt_i32_e64 s0, 5, v27
	v_cmp_eq_u32_e64 s3, 3, v27
	v_lshrrev_b32_e32 v27, 16, v31
	v_lshl_or_b32 v26, v26, 9, 0x7c00
	s_delay_alu instid0(VALU_DEP_3) | instskip(NEXT) | instid1(VALU_DEP_2)
	s_or_b32 s0, s3, s0
	v_and_or_b32 v23, 0x8000, v27, v23
	s_wait_alu 0xfffe
	v_add_co_ci_u32_e64 v3, s0, 0, v3, s0
	v_cmp_gt_i32_e64 s0, 31, v22
	v_cmp_ne_u32_e64 s3, 0, v20
	s_wait_alu 0xf1ff
	s_delay_alu instid0(VALU_DEP_2) | instskip(SKIP_3) | instid1(VALU_DEP_2)
	v_cndmask_b32_e64 v3, 0x7c00, v3, s0
	v_cmp_eq_u32_e64 s0, 0x40f, v22
	v_add_nc_u32_e32 v22, 0xfffffc10, v25
	s_wait_alu 0xf1ff
	v_cndmask_b32_e64 v3, v3, v26, s0
	s_delay_alu instid0(VALU_DEP_2)
	v_lshl_or_b32 v25, v22, 12, v20
	v_cmp_gt_i32_e64 s0, 1, v22
	v_add_nc_u32_e32 v20, 0xfffffc10, v33
	scratch_load_b32 v33, off, off offset:120 th:TH_LOAD_LU ; 4-byte Folded Reload
	v_and_or_b32 v3, 0x8000, v19, v3
	s_wait_alu 0xf1ff
	v_cndmask_b32_e64 v9, v25, v9, s0
	s_delay_alu instid0(VALU_DEP_1) | instskip(SKIP_1) | instid1(VALU_DEP_2)
	v_and_b32_e32 v19, 7, v9
	v_lshrrev_b32_e32 v9, 2, v9
	v_cmp_lt_i32_e64 s0, 5, v19
	v_cmp_eq_u32_e64 s1, 3, v19
	v_and_b32_e32 v19, 0xffff, v23
	v_lshl_or_b32 v23, v20, 12, v32
	s_delay_alu instid0(VALU_DEP_3) | instskip(NEXT) | instid1(VALU_DEP_2)
	s_or_b32 s0, s1, s0
	v_lshl_or_b32 v3, v3, 16, v19
	v_cndmask_b32_e64 v19, 0, 1, s2
	v_cmp_gt_i32_e64 s2, 1, v20
	s_wait_alu 0xfffe
	v_add_co_ci_u32_e64 v9, s0, 0, v9, s0
	v_cmp_gt_i32_e64 s0, 31, v22
	v_or_b32_e32 v19, v36, v19
	global_store_b32 v[28:29], v3, off
	scratch_load_b32 v36, off, off offset:124 th:TH_LOAD_LU ; 4-byte Folded Reload
	s_wait_alu 0xf1ff
	v_cndmask_b32_e64 v9, 0x7c00, v9, s0
	v_cndmask_b32_e64 v19, v23, v19, s2
	;; [unrolled: 1-line block ×3, first 2 shown]
	v_cmp_eq_u32_e64 s0, 0x40f, v22
	v_cmp_ne_u32_e64 s2, 0, v32
	v_cmp_gt_i32_e64 s3, 1, v7
	v_and_b32_e32 v22, 7, v19
	v_lshl_or_b32 v23, v23, 9, 0x7c00
	v_lshrrev_b32_e32 v19, 2, v19
	s_delay_alu instid0(VALU_DEP_3) | instskip(SKIP_1) | instid1(VALU_DEP_3)
	v_cmp_eq_u32_e64 s1, 3, v22
	s_wait_alu 0xf1ff
	v_cndmask_b32_e64 v9, v9, v23, s0
	v_cmp_lt_i32_e64 s0, 5, v22
	v_cndmask_b32_e64 v22, 0, 1, s2
	s_delay_alu instid0(VALU_DEP_3) | instskip(NEXT) | instid1(VALU_DEP_3)
	v_and_or_b32 v9, 0x8000, v21, v9
	s_or_b32 s0, s1, s0
	s_delay_alu instid0(VALU_DEP_2)
	v_lshl_or_b32 v22, v22, 9, 0x7c00
	s_wait_alu 0xfffe
	v_add_co_ci_u32_e64 v19, s0, 0, v19, s0
	v_cmp_gt_i32_e64 s0, 31, v20
	v_and_b32_e32 v9, 0xffff, v9
	s_wait_alu 0xf1ff
	s_delay_alu instid0(VALU_DEP_2) | instskip(SKIP_2) | instid1(VALU_DEP_1)
	v_cndmask_b32_e64 v19, 0x7c00, v19, s0
	v_cmp_eq_u32_e64 s0, 0x40f, v20
	s_wait_alu 0xf1ff
	v_cndmask_b32_e64 v19, v19, v22, s0
	s_mul_i32 s0, s9, 0xffffdf18
	scratch_load_b32 v22, off, off offset:128 th:TH_LOAD_LU ; 4-byte Folded Reload
	s_wait_alu 0xfffe
	s_sub_co_i32 s9, s0, s8
	v_and_or_b32 v3, 0x8000, v18, v19
	v_mad_co_u64_u32 v[18:19], null, 0xffffdf18, s8, v[28:29]
	s_delay_alu instid0(VALU_DEP_2) | instskip(SKIP_1) | instid1(VALU_DEP_2)
	v_lshl_or_b32 v3, v3, 16, v9
	s_wait_alu 0xfffe
	v_add_nc_u32_e32 v19, s9, v19
	global_store_b32 v[18:19], v3, off
	v_cvt_f32_f16_e32 v3, v24
	v_add_co_u32 v18, s0, v18, s12
	s_wait_alu 0xf1ff
	v_add_co_ci_u32_e64 v19, s0, s13, v19, s0
	s_delay_alu instid0(VALU_DEP_3) | instskip(NEXT) | instid1(VALU_DEP_1)
	v_cvt_f64_f32_e32 v[20:21], v3
	v_mul_f64_e32 v[20:21], s[10:11], v[20:21]
	s_delay_alu instid0(VALU_DEP_1)
	v_and_or_b32 v3, 0x1ff, v21, v20
	scratch_load_b32 v20, off, off offset:132 th:TH_LOAD_LU ; 4-byte Folded Reload
	v_lshrrev_b32_e32 v9, 8, v21
	v_bfe_u32 v25, v21, 20, 11
	v_lshrrev_b32_e32 v21, 16, v21
	v_cmp_ne_u32_e64 s0, 0, v3
	s_wait_alu 0xf1ff
	s_delay_alu instid0(VALU_DEP_1) | instskip(NEXT) | instid1(VALU_DEP_1)
	v_cndmask_b32_e64 v3, 0, 1, s0
	v_and_or_b32 v24, 0xffe, v9, v3
	v_sub_nc_u32_e32 v3, 0x3f1, v25
	s_delay_alu instid0(VALU_DEP_2) | instskip(NEXT) | instid1(VALU_DEP_2)
	v_or_b32_e32 v9, 0x1000, v24
	v_med3_i32 v3, v3, 0, 13
	s_delay_alu instid0(VALU_DEP_1) | instskip(NEXT) | instid1(VALU_DEP_1)
	v_lshrrev_b32_e32 v26, v3, v9
	v_lshlrev_b32_e32 v3, v3, v26
	s_delay_alu instid0(VALU_DEP_1) | instskip(SKIP_2) | instid1(VALU_DEP_1)
	v_cmp_ne_u32_e64 s1, v3, v9
	v_lshrrev_b32_e32 v9, 16, v10
	s_wait_loadcnt 0x0
	v_mul_f16_e32 v3, v20, v9
	v_mul_f16_e32 v20, v20, v10
	s_delay_alu instid0(VALU_DEP_2) | instskip(NEXT) | instid1(VALU_DEP_2)
	v_fmac_f16_e32 v3, v22, v10
	v_fma_f16 v22, v22, v9, -v20
	v_mul_f16_e32 v9, v38, v13
	scratch_load_b32 v38, off, off offset:92 th:TH_LOAD_LU ; 4-byte Folded Reload
	v_cvt_f32_f16_e32 v3, v3
	v_fmac_f16_e32 v9, v37, v11
	scratch_load_b32 v37, off, off offset:88 th:TH_LOAD_LU ; 4-byte Folded Reload
	v_cvt_f32_f16_e32 v9, v9
	s_delay_alu instid0(VALU_DEP_1) | instskip(NEXT) | instid1(VALU_DEP_1)
	v_cvt_f64_f32_e32 v[9:10], v9
	v_mul_f64_e32 v[9:10], s[10:11], v[9:10]
	s_delay_alu instid0(VALU_DEP_1) | instskip(SKIP_1) | instid1(VALU_DEP_2)
	v_and_or_b32 v9, 0x1ff, v10, v9
	v_lshrrev_b32_e32 v11, 8, v10
	v_cmp_ne_u32_e64 s0, 0, v9
	s_wait_alu 0xf1ff
	s_delay_alu instid0(VALU_DEP_1) | instskip(NEXT) | instid1(VALU_DEP_1)
	v_cndmask_b32_e64 v9, 0, 1, s0
	v_and_or_b32 v9, 0xffe, v11, v9
	v_bfe_u32 v11, v10, 20, 11
	v_lshrrev_b32_e32 v10, 16, v10
	s_delay_alu instid0(VALU_DEP_3) | instskip(NEXT) | instid1(VALU_DEP_3)
	v_or_b32_e32 v20, 0x1000, v9
	v_sub_nc_u32_e32 v13, 0x3f1, v11
	v_add_nc_u32_e32 v11, 0xfffffc10, v11
	s_delay_alu instid0(VALU_DEP_2) | instskip(NEXT) | instid1(VALU_DEP_1)
	v_med3_i32 v13, v13, 0, 13
	v_lshrrev_b32_e32 v23, v13, v20
	s_delay_alu instid0(VALU_DEP_1) | instskip(NEXT) | instid1(VALU_DEP_1)
	v_lshlrev_b32_e32 v13, v13, v23
	v_cmp_ne_u32_e64 s0, v13, v20
	v_lshl_or_b32 v20, v11, 12, v9
	s_wait_alu 0xf1ff
	s_delay_alu instid0(VALU_DEP_2) | instskip(SKIP_1) | instid1(VALU_DEP_2)
	v_cndmask_b32_e64 v13, 0, 1, s0
	v_cmp_gt_i32_e64 s0, 1, v11
	v_or_b32_e32 v13, v23, v13
	scratch_load_b32 v23, off, off offset:112 th:TH_LOAD_LU ; 4-byte Folded Reload
	s_wait_alu 0xf1ff
	v_cndmask_b32_e64 v13, v20, v13, s0
	s_delay_alu instid0(VALU_DEP_1) | instskip(SKIP_1) | instid1(VALU_DEP_2)
	v_and_b32_e32 v20, 7, v13
	v_lshrrev_b32_e32 v13, 2, v13
	v_cmp_lt_i32_e64 s0, 5, v20
	v_cmp_eq_u32_e64 s2, 3, v20
	s_wait_alu 0xfffd
	v_cndmask_b32_e64 v20, 0, 1, vcc_lo
	v_cmp_ne_u32_e32 vcc_lo, 0, v9
	v_lshl_or_b32 v9, v7, 12, v1
	s_or_b32 s0, s2, s0
	s_delay_alu instid0(VALU_DEP_3)
	v_or_b32_e32 v16, v16, v20
	s_wait_alu 0xfffe
	v_add_co_ci_u32_e64 v13, s0, 0, v13, s0
	v_cmp_gt_i32_e64 s0, 31, v11
	v_cmp_ne_u32_e64 s2, 0, v1
	v_cndmask_b32_e64 v9, v9, v16, s3
	s_wait_alu 0xfffd
	v_cndmask_b32_e64 v16, 0, 1, vcc_lo
	v_cmp_eq_u32_e32 vcc_lo, 0x40f, v11
	s_wait_alu 0xf1ff
	v_cndmask_b32_e64 v13, 0x7c00, v13, s0
	v_lshrrev_b32_e32 v1, 2, v9
	v_lshl_or_b32 v16, v16, 9, 0x7c00
	s_wait_alu 0xfffd
	s_delay_alu instid0(VALU_DEP_1) | instskip(SKIP_2) | instid1(VALU_DEP_2)
	v_cndmask_b32_e32 v11, v13, v16, vcc_lo
	v_and_b32_e32 v13, 7, v9
	v_cndmask_b32_e64 v9, 0, 1, s2
	v_cmp_lt_i32_e32 vcc_lo, 5, v13
	v_cmp_eq_u32_e64 s0, 3, v13
	s_delay_alu instid0(VALU_DEP_3) | instskip(NEXT) | instid1(VALU_DEP_2)
	v_lshl_or_b32 v9, v9, 9, 0x7c00
	s_or_b32 vcc_lo, s0, vcc_lo
	s_wait_alu 0xfffe
	v_add_co_ci_u32_e32 v1, vcc_lo, 0, v1, vcc_lo
	v_cmp_gt_i32_e32 vcc_lo, 31, v7
	s_wait_alu 0xfffd
	s_delay_alu instid0(VALU_DEP_2)
	v_cndmask_b32_e32 v1, 0x7c00, v1, vcc_lo
	v_cmp_eq_u32_e32 vcc_lo, 0x40f, v7
	v_lshrrev_b32_e32 v7, 16, v17
	ds_load_2addr_b32 v[16:17], v145 offset0:42 offset1:123
	s_wait_alu 0xfffd
	v_cndmask_b32_e32 v1, v1, v9, vcc_lo
	v_and_or_b32 v9, 0x8000, v10, v11
	v_add_co_u32 v10, vcc_lo, v18, s12
	s_wait_alu 0xfffd
	v_add_co_ci_u32_e32 v11, vcc_lo, s13, v19, vcc_lo
	v_and_or_b32 v1, 0x8000, v7, v1
	v_and_b32_e32 v7, 0xffff, v9
	s_delay_alu instid0(VALU_DEP_1) | instskip(SKIP_4) | instid1(VALU_DEP_1)
	v_lshl_or_b32 v1, v1, 16, v7
	global_store_b32 v[18:19], v1, off
	s_wait_dscnt 0x0
	v_lshrrev_b32_e32 v27, 16, v16
	v_mul_f16_e32 v1, v36, v16
	v_fma_f16 v1, v33, v27, -v1
	s_delay_alu instid0(VALU_DEP_1) | instskip(NEXT) | instid1(VALU_DEP_1)
	v_cvt_f32_f16_e32 v1, v1
	v_cvt_f64_f32_e32 v[18:19], v1
	s_delay_alu instid0(VALU_DEP_1) | instskip(NEXT) | instid1(VALU_DEP_1)
	v_mul_f64_e32 v[19:20], s[10:11], v[18:19]
	v_and_or_b32 v1, 0x1ff, v20, v19
	v_lshrrev_b32_e32 v7, 8, v20
	v_bfe_u32 v29, v20, 20, 11
	s_delay_alu instid0(VALU_DEP_3) | instskip(SKIP_2) | instid1(VALU_DEP_1)
	v_cmp_ne_u32_e32 vcc_lo, 0, v1
	s_wait_alu 0xfffd
	v_cndmask_b32_e64 v1, 0, 1, vcc_lo
	v_and_or_b32 v28, 0xffe, v7, v1
	v_sub_nc_u32_e32 v1, 0x3f1, v29
	s_delay_alu instid0(VALU_DEP_2) | instskip(NEXT) | instid1(VALU_DEP_2)
	v_or_b32_e32 v7, 0x1000, v28
	v_med3_i32 v1, v1, 0, 13
	s_delay_alu instid0(VALU_DEP_1) | instskip(NEXT) | instid1(VALU_DEP_1)
	v_lshrrev_b32_e32 v30, v1, v7
	v_lshlrev_b32_e32 v1, v1, v30
	s_delay_alu instid0(VALU_DEP_1) | instskip(SKIP_3) | instid1(VALU_DEP_1)
	v_cmp_ne_u32_e64 s0, v1, v7
	v_cvt_f32_f16_e32 v1, v22
	scratch_load_b32 v22, off, off offset:116 th:TH_LOAD_LU ; 4-byte Folded Reload
	v_cvt_f64_f32_e32 v[18:19], v1
	v_mul_f64_e32 v[18:19], s[10:11], v[18:19]
	s_delay_alu instid0(VALU_DEP_1) | instskip(SKIP_2) | instid1(VALU_DEP_3)
	v_and_or_b32 v1, 0x1ff, v19, v18
	v_lshrrev_b32_e32 v7, 8, v19
	v_bfe_u32 v9, v19, 20, 11
	v_cmp_ne_u32_e32 vcc_lo, 0, v1
	s_wait_alu 0xfffd
	v_cndmask_b32_e64 v1, 0, 1, vcc_lo
	s_delay_alu instid0(VALU_DEP_1) | instskip(SKIP_1) | instid1(VALU_DEP_2)
	v_and_or_b32 v7, 0xffe, v7, v1
	v_sub_nc_u32_e32 v1, 0x3f1, v9
	v_or_b32_e32 v18, 0x1000, v7
	s_delay_alu instid0(VALU_DEP_2) | instskip(NEXT) | instid1(VALU_DEP_1)
	v_med3_i32 v1, v1, 0, 13
	v_lshrrev_b32_e32 v13, v1, v18
	s_delay_alu instid0(VALU_DEP_1) | instskip(NEXT) | instid1(VALU_DEP_1)
	v_lshlrev_b32_e32 v1, v1, v13
	v_cmp_ne_u32_e32 vcc_lo, v1, v18
	v_lshrrev_b32_e32 v18, 16, v15
	s_wait_loadcnt 0x0
	s_delay_alu instid0(VALU_DEP_1) | instskip(SKIP_1) | instid1(VALU_DEP_2)
	v_mul_f16_e32 v1, v22, v18
	v_mul_f16_e32 v22, v22, v15
	v_fmac_f16_e32 v1, v23, v15
	s_delay_alu instid0(VALU_DEP_2) | instskip(SKIP_1) | instid1(VALU_DEP_3)
	v_fma_f16 v31, v23, v18, -v22
	v_cvt_f64_f32_e32 v[22:23], v5
	v_cvt_f32_f16_e32 v1, v1
	s_delay_alu instid0(VALU_DEP_2) | instskip(NEXT) | instid1(VALU_DEP_1)
	v_mul_f64_e32 v[22:23], s[10:11], v[22:23]
	v_and_or_b32 v5, 0x1ff, v23, v22
	v_lshrrev_b32_e32 v15, 8, v23
	s_delay_alu instid0(VALU_DEP_2) | instskip(SKIP_1) | instid1(VALU_DEP_1)
	v_cmp_ne_u32_e64 s2, 0, v5
	s_wait_alu 0xf1ff
	v_cndmask_b32_e64 v5, 0, 1, s2
	s_delay_alu instid0(VALU_DEP_1) | instskip(SKIP_1) | instid1(VALU_DEP_2)
	v_and_or_b32 v5, 0xffe, v15, v5
	v_bfe_u32 v15, v23, 20, 11
	v_or_b32_e32 v22, 0x1000, v5
	s_delay_alu instid0(VALU_DEP_2) | instskip(SKIP_1) | instid1(VALU_DEP_2)
	v_sub_nc_u32_e32 v18, 0x3f1, v15
	v_add_nc_u32_e32 v15, 0xfffffc10, v15
	v_med3_i32 v18, v18, 0, 13
	s_delay_alu instid0(VALU_DEP_1) | instskip(NEXT) | instid1(VALU_DEP_1)
	v_lshrrev_b32_e32 v32, v18, v22
	v_lshlrev_b32_e32 v18, v18, v32
	s_delay_alu instid0(VALU_DEP_1) | instskip(SKIP_2) | instid1(VALU_DEP_2)
	v_cmp_ne_u32_e64 s2, v18, v22
	v_lshl_or_b32 v22, v15, 12, v5
	s_wait_alu 0xf1ff
	v_cndmask_b32_e64 v18, 0, 1, s2
	v_cmp_gt_i32_e64 s2, 1, v15
	s_delay_alu instid0(VALU_DEP_2) | instskip(SKIP_1) | instid1(VALU_DEP_1)
	v_or_b32_e32 v18, v32, v18
	s_wait_alu 0xf1ff
	v_cndmask_b32_e64 v18, v22, v18, s2
	s_delay_alu instid0(VALU_DEP_1) | instskip(SKIP_1) | instid1(VALU_DEP_2)
	v_and_b32_e32 v22, 7, v18
	v_lshrrev_b32_e32 v18, 2, v18
	v_cmp_lt_i32_e64 s2, 5, v22
	v_cmp_eq_u32_e64 s3, 3, v22
	v_cndmask_b32_e64 v22, 0, 1, s1
	v_cmp_ne_u32_e64 s1, 0, v5
	v_add_nc_u32_e32 v5, 0xfffffc10, v25
	s_delay_alu instid0(VALU_DEP_4) | instskip(NEXT) | instid1(VALU_DEP_3)
	s_or_b32 s2, s3, s2
	v_or_b32_e32 v22, v26, v22
	s_wait_alu 0xfffe
	v_add_co_ci_u32_e64 v18, s2, 0, v18, s2
	v_lshl_or_b32 v25, v5, 12, v24
	v_cmp_gt_i32_e64 s4, 1, v5
	v_cmp_gt_i32_e64 s2, 31, v15
	v_cmp_ne_u32_e64 s3, 0, v24
	s_wait_alu 0xf1ff
	s_delay_alu instid0(VALU_DEP_3) | instskip(SKIP_3) | instid1(VALU_DEP_3)
	v_cndmask_b32_e64 v22, v25, v22, s4
	v_cndmask_b32_e64 v25, 0, 1, s1
	;; [unrolled: 1-line block ×3, first 2 shown]
	v_cmp_eq_u32_e64 s1, 0x40f, v15
	v_lshl_or_b32 v25, v25, 9, 0x7c00
	s_wait_alu 0xf1ff
	s_delay_alu instid0(VALU_DEP_1) | instskip(SKIP_3) | instid1(VALU_DEP_3)
	v_cndmask_b32_e64 v15, v18, v25, s1
	v_lshrrev_b32_e32 v18, 16, v23
	v_and_b32_e32 v23, 7, v22
	v_lshrrev_b32_e32 v22, 2, v22
	v_and_or_b32 v15, 0x8000, v18, v15
	s_delay_alu instid0(VALU_DEP_3) | instskip(SKIP_2) | instid1(VALU_DEP_4)
	v_cmp_lt_i32_e64 s1, 5, v23
	v_cmp_eq_u32_e64 s2, 3, v23
	v_cndmask_b32_e64 v23, 0, 1, s3
	v_and_b32_e32 v15, 0xffff, v15
	s_delay_alu instid0(VALU_DEP_3) | instskip(NEXT) | instid1(VALU_DEP_2)
	s_or_b32 s1, s2, s1
	v_lshl_or_b32 v23, v23, 9, 0x7c00
	s_wait_alu 0xfffe
	v_add_co_ci_u32_e64 v22, s1, 0, v22, s1
	v_cmp_gt_i32_e64 s1, 31, v5
	s_wait_alu 0xf1ff
	s_delay_alu instid0(VALU_DEP_1) | instskip(SKIP_2) | instid1(VALU_DEP_1)
	v_cndmask_b32_e64 v22, 0x7c00, v22, s1
	v_cmp_eq_u32_e64 s1, 0x40f, v5
	s_wait_alu 0xf1ff
	v_cndmask_b32_e64 v5, v22, v23, s1
	s_delay_alu instid0(VALU_DEP_1) | instskip(SKIP_3) | instid1(VALU_DEP_3)
	v_and_or_b32 v5, 0x8000, v21, v5
	v_add_co_u32 v21, s1, v10, s12
	s_wait_alu 0xf1ff
	v_add_co_ci_u32_e64 v22, s1, s13, v11, s1
	v_lshl_or_b32 v5, v5, 16, v15
	global_store_b32 v[10:11], v5, off
	ds_load_2addr_b32 v[10:11], v144 offset0:16 offset1:97
	s_wait_dscnt 0x0
	v_lshrrev_b32_e32 v25, 16, v10
	v_mul_f16_e32 v5, v35, v10
	s_delay_alu instid0(VALU_DEP_1) | instskip(NEXT) | instid1(VALU_DEP_1)
	v_fma_f16 v5, v34, v25, -v5
	v_cvt_f32_f16_e32 v5, v5
	s_delay_alu instid0(VALU_DEP_1) | instskip(NEXT) | instid1(VALU_DEP_1)
	v_cvt_f64_f32_e32 v[23:24], v5
	v_mul_f64_e32 v[23:24], s[10:11], v[23:24]
	s_delay_alu instid0(VALU_DEP_1) | instskip(SKIP_2) | instid1(VALU_DEP_3)
	v_and_or_b32 v5, 0x1ff, v24, v23
	v_lshrrev_b32_e32 v15, 8, v24
	v_bfe_u32 v26, v24, 20, 11
	v_cmp_ne_u32_e64 s1, 0, v5
	s_wait_alu 0xf1ff
	s_delay_alu instid0(VALU_DEP_1) | instskip(NEXT) | instid1(VALU_DEP_1)
	v_cndmask_b32_e64 v5, 0, 1, s1
	v_and_or_b32 v23, 0xffe, v15, v5
	v_sub_nc_u32_e32 v5, 0x3f1, v26
	s_delay_alu instid0(VALU_DEP_2) | instskip(NEXT) | instid1(VALU_DEP_2)
	v_or_b32_e32 v15, 0x1000, v23
	v_med3_i32 v5, v5, 0, 13
	s_delay_alu instid0(VALU_DEP_1) | instskip(NEXT) | instid1(VALU_DEP_1)
	v_lshrrev_b32_e32 v32, v5, v15
	v_lshlrev_b32_e32 v5, v5, v32
	s_delay_alu instid0(VALU_DEP_1) | instskip(SKIP_1) | instid1(VALU_DEP_1)
	v_cmp_ne_u32_e64 s1, v5, v15
	v_mul_f16_e32 v5, v36, v27
	v_fmac_f16_e32 v5, v33, v16
	s_delay_alu instid0(VALU_DEP_1) | instskip(NEXT) | instid1(VALU_DEP_1)
	v_cvt_f32_f16_e32 v5, v5
	v_cvt_f64_f32_e32 v[15:16], v5
	s_delay_alu instid0(VALU_DEP_1) | instskip(NEXT) | instid1(VALU_DEP_1)
	v_mul_f64_e32 v[15:16], s[10:11], v[15:16]
	v_and_or_b32 v5, 0x1ff, v16, v15
	v_lshrrev_b32_e32 v15, 8, v16
	s_delay_alu instid0(VALU_DEP_2) | instskip(SKIP_1) | instid1(VALU_DEP_1)
	v_cmp_ne_u32_e64 s2, 0, v5
	s_wait_alu 0xf1ff
	v_cndmask_b32_e64 v5, 0, 1, s2
	s_delay_alu instid0(VALU_DEP_1) | instskip(SKIP_2) | instid1(VALU_DEP_3)
	v_and_or_b32 v5, 0xffe, v15, v5
	v_bfe_u32 v15, v16, 20, 11
	v_lshrrev_b32_e32 v16, 16, v16
	v_or_b32_e32 v27, 0x1000, v5
	s_delay_alu instid0(VALU_DEP_3) | instskip(SKIP_1) | instid1(VALU_DEP_2)
	v_sub_nc_u32_e32 v18, 0x3f1, v15
	v_add_nc_u32_e32 v15, 0xfffffc10, v15
	v_med3_i32 v18, v18, 0, 13
	s_delay_alu instid0(VALU_DEP_1) | instskip(NEXT) | instid1(VALU_DEP_1)
	v_lshrrev_b32_e32 v33, v18, v27
	v_lshlrev_b32_e32 v18, v18, v33
	s_delay_alu instid0(VALU_DEP_1) | instskip(SKIP_2) | instid1(VALU_DEP_2)
	v_cmp_ne_u32_e64 s2, v18, v27
	v_lshl_or_b32 v27, v15, 12, v5
	s_wait_alu 0xf1ff
	v_cndmask_b32_e64 v18, 0, 1, s2
	v_cmp_gt_i32_e64 s2, 1, v15
	s_delay_alu instid0(VALU_DEP_2) | instskip(SKIP_1) | instid1(VALU_DEP_1)
	v_or_b32_e32 v18, v33, v18
	s_wait_alu 0xf1ff
	v_cndmask_b32_e64 v18, v27, v18, s2
	s_delay_alu instid0(VALU_DEP_1) | instskip(SKIP_1) | instid1(VALU_DEP_2)
	v_and_b32_e32 v27, 7, v18
	v_lshrrev_b32_e32 v18, 2, v18
	v_cmp_lt_i32_e64 s2, 5, v27
	v_cmp_eq_u32_e64 s3, 3, v27
	v_cndmask_b32_e64 v27, 0, 1, s0
	v_cmp_ne_u32_e64 s0, 0, v5
	v_add_nc_u32_e32 v5, 0xfffffc10, v29
	s_delay_alu instid0(VALU_DEP_4) | instskip(NEXT) | instid1(VALU_DEP_3)
	s_or_b32 s2, s3, s2
	v_or_b32_e32 v27, v30, v27
	s_wait_alu 0xfffe
	v_add_co_ci_u32_e64 v18, s2, 0, v18, s2
	v_lshl_or_b32 v29, v5, 12, v28
	v_cmp_gt_i32_e64 s4, 1, v5
	v_cmp_gt_i32_e64 s2, 31, v15
	v_cmp_ne_u32_e64 s3, 0, v28
	s_wait_alu 0xf1ff
	s_delay_alu instid0(VALU_DEP_3) | instskip(SKIP_3) | instid1(VALU_DEP_3)
	v_cndmask_b32_e64 v27, v29, v27, s4
	v_cndmask_b32_e64 v29, 0, 1, s0
	;; [unrolled: 1-line block ×3, first 2 shown]
	v_cmp_eq_u32_e64 s0, 0x40f, v15
	v_lshl_or_b32 v29, v29, 9, 0x7c00
	s_wait_alu 0xf1ff
	s_delay_alu instid0(VALU_DEP_1) | instskip(SKIP_1) | instid1(VALU_DEP_2)
	v_cndmask_b32_e64 v15, v18, v29, s0
	v_and_b32_e32 v18, 7, v27
	v_and_or_b32 v15, 0x8000, v16, v15
	s_delay_alu instid0(VALU_DEP_2) | instskip(SKIP_4) | instid1(VALU_DEP_4)
	v_cmp_lt_i32_e64 s0, 5, v18
	v_cmp_eq_u32_e64 s2, 3, v18
	v_lshrrev_b32_e32 v18, 2, v27
	v_cndmask_b32_e64 v27, 0, 1, s3
	v_and_b32_e32 v15, 0xffff, v15
	s_or_b32 s0, s2, s0
	s_wait_alu 0xfffe
	v_add_co_ci_u32_e64 v18, s0, 0, v18, s0
	v_cmp_gt_i32_e64 s0, 31, v5
	v_lshl_or_b32 v27, v27, 9, 0x7c00
	s_wait_alu 0xf1ff
	s_delay_alu instid0(VALU_DEP_2) | instskip(SKIP_2) | instid1(VALU_DEP_1)
	v_cndmask_b32_e64 v18, 0x7c00, v18, s0
	v_cmp_eq_u32_e64 s0, 0x40f, v5
	s_wait_alu 0xf1ff
	v_cndmask_b32_e64 v5, v18, v27, s0
	v_lshrrev_b32_e32 v18, 16, v20
	s_delay_alu instid0(VALU_DEP_1) | instskip(NEXT) | instid1(VALU_DEP_1)
	v_and_or_b32 v5, 0x8000, v18, v5
	v_lshl_or_b32 v5, v5, 16, v15
	v_add_co_u32 v15, s0, v21, s12
	s_wait_alu 0xf1ff
	v_add_co_ci_u32_e64 v16, s0, s13, v22, s0
	global_store_b32 v[21:22], v5, off
	v_cvt_f64_f32_e32 v[20:21], v3
	s_delay_alu instid0(VALU_DEP_1) | instskip(NEXT) | instid1(VALU_DEP_1)
	v_mul_f64_e32 v[20:21], s[10:11], v[20:21]
	v_and_or_b32 v3, 0x1ff, v21, v20
	v_lshrrev_b32_e32 v5, 8, v21
	s_delay_alu instid0(VALU_DEP_2) | instskip(SKIP_1) | instid1(VALU_DEP_1)
	v_cmp_ne_u32_e64 s0, 0, v3
	s_wait_alu 0xf1ff
	v_cndmask_b32_e64 v3, 0, 1, s0
	s_delay_alu instid0(VALU_DEP_1) | instskip(SKIP_1) | instid1(VALU_DEP_2)
	v_and_or_b32 v3, 0xffe, v5, v3
	v_bfe_u32 v5, v21, 20, 11
	v_or_b32_e32 v20, 0x1000, v3
	s_delay_alu instid0(VALU_DEP_2) | instskip(SKIP_1) | instid1(VALU_DEP_2)
	v_sub_nc_u32_e32 v18, 0x3f1, v5
	v_add_nc_u32_e32 v5, 0xfffffc10, v5
	v_med3_i32 v18, v18, 0, 13
	s_delay_alu instid0(VALU_DEP_1) | instskip(NEXT) | instid1(VALU_DEP_1)
	v_lshrrev_b32_e32 v22, v18, v20
	v_lshlrev_b32_e32 v18, v18, v22
	s_delay_alu instid0(VALU_DEP_1) | instskip(SKIP_2) | instid1(VALU_DEP_2)
	v_cmp_ne_u32_e64 s0, v18, v20
	v_lshl_or_b32 v20, v5, 12, v3
	s_wait_alu 0xf1ff
	v_cndmask_b32_e64 v18, 0, 1, s0
	v_cmp_gt_i32_e64 s0, 1, v5
	s_delay_alu instid0(VALU_DEP_2) | instskip(SKIP_1) | instid1(VALU_DEP_1)
	v_or_b32_e32 v18, v22, v18
	s_wait_alu 0xf1ff
	v_cndmask_b32_e64 v18, v20, v18, s0
	s_delay_alu instid0(VALU_DEP_1) | instskip(NEXT) | instid1(VALU_DEP_1)
	v_and_b32_e32 v20, 7, v18
	v_cmp_lt_i32_e64 s0, 5, v20
	v_cmp_eq_u32_e64 s2, 3, v20
	s_wait_alu 0xfffd
	v_cndmask_b32_e64 v20, 0, 1, vcc_lo
	v_cmp_ne_u32_e32 vcc_lo, 0, v3
	v_add_nc_u32_e32 v3, 0xfffffc10, v9
	s_or_b32 s0, s2, s0
	s_delay_alu instid0(VALU_DEP_3) | instskip(SKIP_1) | instid1(VALU_DEP_3)
	v_or_b32_e32 v13, v13, v20
	v_cmp_ne_u32_e64 s2, 0, v7
	v_lshl_or_b32 v9, v3, 12, v7
	v_cmp_gt_i32_e64 s3, 1, v3
	v_lshrrev_b32_e32 v7, 16, v21
	scratch_load_b32 v20, off, off offset:96 th:TH_LOAD_LU ; 4-byte Folded Reload
	s_wait_alu 0xf1ff
	v_cndmask_b32_e64 v9, v9, v13, s3
	v_lshrrev_b32_e32 v13, 2, v18
	s_wait_alu 0xfffd
	v_cndmask_b32_e64 v18, 0, 1, vcc_lo
	v_cmp_eq_u32_e32 vcc_lo, 0x40f, v5
	s_wait_alu 0xfffe
	v_add_co_ci_u32_e64 v13, s0, 0, v13, s0
	v_cmp_gt_i32_e64 s0, 31, v5
	v_lshl_or_b32 v18, v18, 9, 0x7c00
	s_wait_alu 0xf1ff
	s_delay_alu instid0(VALU_DEP_2) | instskip(SKIP_1) | instid1(VALU_DEP_1)
	v_cndmask_b32_e64 v13, 0x7c00, v13, s0
	s_wait_alu 0xfffd
	v_cndmask_b32_e32 v5, v13, v18, vcc_lo
	v_and_b32_e32 v13, 7, v9
	v_lshrrev_b32_e32 v9, 2, v9
	s_delay_alu instid0(VALU_DEP_3) | instskip(NEXT) | instid1(VALU_DEP_3)
	v_and_or_b32 v5, 0x8000, v7, v5
	v_cmp_lt_i32_e32 vcc_lo, 5, v13
	v_cmp_eq_u32_e64 s0, 3, v13
	v_cndmask_b32_e64 v13, 0, 1, s2
	s_delay_alu instid0(VALU_DEP_4) | instskip(NEXT) | instid1(VALU_DEP_3)
	v_and_b32_e32 v5, 0xffff, v5
	s_or_b32 vcc_lo, s0, vcc_lo
	s_delay_alu instid0(VALU_DEP_2) | instskip(SKIP_4) | instid1(VALU_DEP_2)
	v_lshl_or_b32 v13, v13, 9, 0x7c00
	s_wait_alu 0xfffe
	v_add_co_ci_u32_e32 v9, vcc_lo, 0, v9, vcc_lo
	v_cmp_gt_i32_e32 vcc_lo, 31, v3
	s_wait_alu 0xfffd
	v_cndmask_b32_e32 v9, 0x7c00, v9, vcc_lo
	v_cmp_eq_u32_e32 vcc_lo, 0x40f, v3
	s_wait_alu 0xfffd
	s_delay_alu instid0(VALU_DEP_2) | instskip(SKIP_4) | instid1(VALU_DEP_3)
	v_cndmask_b32_e32 v3, v9, v13, vcc_lo
	v_lshrrev_b32_e32 v9, 16, v19
	v_add_co_u32 v18, vcc_lo, v15, s12
	s_wait_alu 0xfffd
	v_add_co_ci_u32_e32 v19, vcc_lo, s13, v16, vcc_lo
	v_and_or_b32 v3, 0x8000, v9, v3
	s_delay_alu instid0(VALU_DEP_1) | instskip(SKIP_2) | instid1(VALU_DEP_1)
	v_lshl_or_b32 v3, v3, 16, v5
	global_store_b32 v[15:16], v3, off
	v_cvt_f32_f16_e32 v3, v31
	v_cvt_f64_f32_e32 v[15:16], v3
	s_delay_alu instid0(VALU_DEP_1) | instskip(NEXT) | instid1(VALU_DEP_1)
	v_mul_f64_e32 v[15:16], s[10:11], v[15:16]
	v_and_or_b32 v3, 0x1ff, v16, v15
	scratch_load_b32 v15, off, off offset:100 th:TH_LOAD_LU ; 4-byte Folded Reload
	v_lshrrev_b32_e32 v5, 8, v16
	v_bfe_u32 v7, v16, 20, 11
	v_cmp_ne_u32_e32 vcc_lo, 0, v3
	s_wait_alu 0xfffd
	v_cndmask_b32_e64 v3, 0, 1, vcc_lo
	s_delay_alu instid0(VALU_DEP_1) | instskip(SKIP_1) | instid1(VALU_DEP_2)
	v_and_or_b32 v5, 0xffe, v5, v3
	v_sub_nc_u32_e32 v3, 0x3f1, v7
	v_or_b32_e32 v9, 0x1000, v5
	s_delay_alu instid0(VALU_DEP_2) | instskip(NEXT) | instid1(VALU_DEP_1)
	v_med3_i32 v3, v3, 0, 13
	v_lshrrev_b32_e32 v13, v3, v9
	s_delay_alu instid0(VALU_DEP_1) | instskip(NEXT) | instid1(VALU_DEP_1)
	v_lshlrev_b32_e32 v3, v3, v13
	v_cmp_ne_u32_e32 vcc_lo, v3, v9
	v_lshrrev_b32_e32 v9, 16, v14
	s_wait_loadcnt 0x0
	s_delay_alu instid0(VALU_DEP_1) | instskip(SKIP_1) | instid1(VALU_DEP_2)
	v_mul_f16_e32 v3, v15, v9
	v_mul_f16_e32 v15, v15, v14
	v_fmac_f16_e32 v3, v20, v14
	s_delay_alu instid0(VALU_DEP_2) | instskip(SKIP_1) | instid1(VALU_DEP_3)
	v_fma_f16 v20, v20, v9, -v15
	v_mul_f16_e32 v9, v35, v25
	v_cvt_f32_f16_e32 v3, v3
	s_delay_alu instid0(VALU_DEP_3) | instskip(NEXT) | instid1(VALU_DEP_3)
	v_cvt_f32_f16_e32 v20, v20
	v_fmac_f16_e32 v9, v34, v10
	s_delay_alu instid0(VALU_DEP_1) | instskip(NEXT) | instid1(VALU_DEP_1)
	v_cvt_f32_f16_e32 v9, v9
	v_cvt_f64_f32_e32 v[9:10], v9
	s_delay_alu instid0(VALU_DEP_1) | instskip(NEXT) | instid1(VALU_DEP_1)
	v_mul_f64_e32 v[9:10], s[10:11], v[9:10]
	v_and_or_b32 v9, 0x1ff, v10, v9
	v_lshrrev_b32_e32 v14, 8, v10
	s_delay_alu instid0(VALU_DEP_2) | instskip(SKIP_1) | instid1(VALU_DEP_1)
	v_cmp_ne_u32_e64 s0, 0, v9
	s_wait_alu 0xf1ff
	v_cndmask_b32_e64 v9, 0, 1, s0
	s_delay_alu instid0(VALU_DEP_1) | instskip(SKIP_2) | instid1(VALU_DEP_3)
	v_and_or_b32 v9, 0xffe, v14, v9
	v_bfe_u32 v14, v10, 20, 11
	v_lshrrev_b32_e32 v10, 16, v10
	v_or_b32_e32 v21, 0x1000, v9
	s_delay_alu instid0(VALU_DEP_3) | instskip(SKIP_1) | instid1(VALU_DEP_2)
	v_sub_nc_u32_e32 v15, 0x3f1, v14
	v_add_nc_u32_e32 v14, 0xfffffc10, v14
	v_med3_i32 v15, v15, 0, 13
	s_delay_alu instid0(VALU_DEP_1) | instskip(NEXT) | instid1(VALU_DEP_1)
	v_lshrrev_b32_e32 v22, v15, v21
	v_lshlrev_b32_e32 v15, v15, v22
	s_delay_alu instid0(VALU_DEP_1) | instskip(SKIP_2) | instid1(VALU_DEP_2)
	v_cmp_ne_u32_e64 s0, v15, v21
	v_lshl_or_b32 v21, v14, 12, v9
	s_wait_alu 0xf1ff
	v_cndmask_b32_e64 v15, 0, 1, s0
	v_cmp_gt_i32_e64 s0, 1, v14
	s_delay_alu instid0(VALU_DEP_2) | instskip(SKIP_1) | instid1(VALU_DEP_1)
	v_or_b32_e32 v15, v22, v15
	s_wait_alu 0xf1ff
	v_cndmask_b32_e64 v15, v21, v15, s0
	s_delay_alu instid0(VALU_DEP_1) | instskip(SKIP_1) | instid1(VALU_DEP_2)
	v_and_b32_e32 v21, 7, v15
	v_lshrrev_b32_e32 v15, 2, v15
	v_cmp_lt_i32_e64 s0, 5, v21
	v_cmp_eq_u32_e64 s2, 3, v21
	v_cndmask_b32_e64 v21, 0, 1, s1
	v_cmp_ne_u32_e64 s1, 0, v9
	v_add_nc_u32_e32 v9, 0xfffffc10, v26
	s_delay_alu instid0(VALU_DEP_4) | instskip(NEXT) | instid1(VALU_DEP_3)
	s_or_b32 s0, s2, s0
	v_or_b32_e32 v21, v32, v21
	s_wait_alu 0xfffe
	v_add_co_ci_u32_e64 v15, s0, 0, v15, s0
	v_lshl_or_b32 v22, v9, 12, v23
	v_cmp_gt_i32_e64 s3, 1, v9
	v_cmp_gt_i32_e64 s0, 31, v14
	v_cmp_ne_u32_e64 s2, 0, v23
	scratch_load_b32 v23, off, off offset:80 th:TH_LOAD_LU ; 4-byte Folded Reload
	s_wait_alu 0xf1ff
	v_cndmask_b32_e64 v21, v22, v21, s3
	v_cndmask_b32_e64 v22, 0, 1, s1
	;; [unrolled: 1-line block ×3, first 2 shown]
	v_cmp_eq_u32_e64 s0, 0x40f, v14
	s_delay_alu instid0(VALU_DEP_3) | instskip(SKIP_1) | instid1(VALU_DEP_1)
	v_lshl_or_b32 v22, v22, 9, 0x7c00
	s_wait_alu 0xf1ff
	v_cndmask_b32_e64 v14, v15, v22, s0
	v_and_b32_e32 v15, 7, v21
	s_delay_alu instid0(VALU_DEP_2) | instskip(NEXT) | instid1(VALU_DEP_2)
	v_and_or_b32 v10, 0x8000, v10, v14
	v_cmp_lt_i32_e64 s0, 5, v15
	v_cmp_eq_u32_e64 s1, 3, v15
	v_lshrrev_b32_e32 v15, 2, v21
	v_cndmask_b32_e64 v21, 0, 1, s2
	v_and_b32_e32 v10, 0xffff, v10
	s_delay_alu instid0(VALU_DEP_4)
	s_or_b32 s0, s1, s0
	s_wait_alu 0xfffe
	v_add_co_ci_u32_e64 v15, s0, 0, v15, s0
	v_cmp_gt_i32_e64 s0, 31, v9
	v_lshl_or_b32 v21, v21, 9, 0x7c00
	s_wait_alu 0xf1ff
	s_delay_alu instid0(VALU_DEP_2) | instskip(SKIP_2) | instid1(VALU_DEP_1)
	v_cndmask_b32_e64 v15, 0x7c00, v15, s0
	v_cmp_eq_u32_e64 s0, 0x40f, v9
	s_wait_alu 0xf1ff
	v_cndmask_b32_e64 v9, v15, v21, s0
	v_lshrrev_b32_e32 v15, 16, v24
	v_add_co_u32 v14, s0, v18, s12
	s_delay_alu instid0(VALU_DEP_2) | instskip(SKIP_2) | instid1(VALU_DEP_2)
	v_and_or_b32 v9, 0x8000, v15, v9
	s_wait_alu 0xf1ff
	v_add_co_ci_u32_e64 v15, s0, s13, v19, s0
	v_lshl_or_b32 v9, v9, 16, v10
	global_store_b32 v[18:19], v9, off
	ds_load_2addr_b32 v[9:10], v55 offset0:118 offset1:199
	s_wait_dscnt 0x0
	v_lshrrev_b32_e32 v29, 16, v9
	v_mul_f16_e32 v18, v38, v9
	s_delay_alu instid0(VALU_DEP_1) | instskip(NEXT) | instid1(VALU_DEP_1)
	v_fma_f16 v18, v37, v29, -v18
	v_cvt_f32_f16_e32 v18, v18
	s_delay_alu instid0(VALU_DEP_1) | instskip(NEXT) | instid1(VALU_DEP_1)
	v_cvt_f64_f32_e32 v[18:19], v18
	v_mul_f64_e32 v[18:19], s[10:11], v[18:19]
	s_delay_alu instid0(VALU_DEP_1) | instskip(SKIP_2) | instid1(VALU_DEP_3)
	v_and_or_b32 v18, 0x1ff, v19, v18
	v_lshrrev_b32_e32 v21, 8, v19
	v_bfe_u32 v26, v19, 20, 11
	v_cmp_ne_u32_e64 s0, 0, v18
	s_wait_alu 0xf1ff
	s_delay_alu instid0(VALU_DEP_1) | instskip(NEXT) | instid1(VALU_DEP_1)
	v_cndmask_b32_e64 v18, 0, 1, s0
	v_and_or_b32 v18, 0xffe, v21, v18
	v_sub_nc_u32_e32 v21, 0x3f1, v26
	s_delay_alu instid0(VALU_DEP_2) | instskip(NEXT) | instid1(VALU_DEP_2)
	v_or_b32_e32 v22, 0x1000, v18
	v_med3_i32 v21, v21, 0, 13
	s_delay_alu instid0(VALU_DEP_1) | instskip(NEXT) | instid1(VALU_DEP_1)
	v_lshrrev_b32_e32 v28, v21, v22
	v_lshlrev_b32_e32 v21, v21, v28
	s_delay_alu instid0(VALU_DEP_1) | instskip(SKIP_1) | instid1(VALU_DEP_1)
	v_cmp_ne_u32_e64 s0, v21, v22
	v_cvt_f64_f32_e32 v[20:21], v20
	v_mul_f64_e32 v[20:21], s[10:11], v[20:21]
	s_delay_alu instid0(VALU_DEP_1) | instskip(SKIP_2) | instid1(VALU_DEP_3)
	v_and_or_b32 v20, 0x1ff, v21, v20
	v_lshrrev_b32_e32 v22, 8, v21
	v_bfe_u32 v30, v21, 20, 11
	v_cmp_ne_u32_e64 s1, 0, v20
	s_wait_alu 0xf1ff
	s_delay_alu instid0(VALU_DEP_1) | instskip(NEXT) | instid1(VALU_DEP_1)
	v_cndmask_b32_e64 v20, 0, 1, s1
	v_and_or_b32 v27, 0xffe, v22, v20
	v_sub_nc_u32_e32 v20, 0x3f1, v30
	s_delay_alu instid0(VALU_DEP_2) | instskip(NEXT) | instid1(VALU_DEP_2)
	v_or_b32_e32 v22, 0x1000, v27
	v_med3_i32 v20, v20, 0, 13
	s_delay_alu instid0(VALU_DEP_1) | instskip(NEXT) | instid1(VALU_DEP_1)
	v_lshrrev_b32_e32 v31, v20, v22
	v_lshlrev_b32_e32 v20, v20, v31
	s_delay_alu instid0(VALU_DEP_1) | instskip(SKIP_3) | instid1(VALU_DEP_1)
	v_cmp_ne_u32_e64 s2, v20, v22
	scratch_load_b32 v22, off, off offset:84 th:TH_LOAD_LU ; 4-byte Folded Reload
	v_lshrrev_b32_e32 v20, 16, v8
	s_wait_loadcnt 0x0
	v_mul_f16_e32 v24, v22, v20
	v_mul_f16_e32 v22, v22, v8
	s_delay_alu instid0(VALU_DEP_2) | instskip(NEXT) | instid1(VALU_DEP_2)
	v_fmac_f16_e32 v24, v23, v8
	v_fma_f16 v34, v23, v20, -v22
	v_cvt_f64_f32_e32 v[22:23], v1
	s_delay_alu instid0(VALU_DEP_1) | instskip(NEXT) | instid1(VALU_DEP_1)
	v_mul_f64_e32 v[22:23], s[10:11], v[22:23]
	v_and_or_b32 v1, 0x1ff, v23, v22
	v_lshrrev_b32_e32 v8, 8, v23
	s_delay_alu instid0(VALU_DEP_2) | instskip(SKIP_1) | instid1(VALU_DEP_1)
	v_cmp_ne_u32_e64 s1, 0, v1
	s_wait_alu 0xf1ff
	v_cndmask_b32_e64 v1, 0, 1, s1
	s_delay_alu instid0(VALU_DEP_1) | instskip(SKIP_1) | instid1(VALU_DEP_2)
	v_and_or_b32 v1, 0xffe, v8, v1
	v_bfe_u32 v8, v23, 20, 11
	v_or_b32_e32 v22, 0x1000, v1
	s_delay_alu instid0(VALU_DEP_2) | instskip(SKIP_1) | instid1(VALU_DEP_2)
	v_sub_nc_u32_e32 v20, 0x3f1, v8
	v_add_nc_u32_e32 v8, 0xfffffc10, v8
	v_med3_i32 v20, v20, 0, 13
	s_delay_alu instid0(VALU_DEP_1) | instskip(NEXT) | instid1(VALU_DEP_1)
	v_lshrrev_b32_e32 v25, v20, v22
	v_lshlrev_b32_e32 v20, v20, v25
	s_delay_alu instid0(VALU_DEP_1) | instskip(SKIP_2) | instid1(VALU_DEP_2)
	v_cmp_ne_u32_e64 s1, v20, v22
	v_lshl_or_b32 v22, v8, 12, v1
	s_wait_alu 0xf1ff
	v_cndmask_b32_e64 v20, 0, 1, s1
	v_cmp_gt_i32_e64 s1, 1, v8
	s_delay_alu instid0(VALU_DEP_2) | instskip(SKIP_1) | instid1(VALU_DEP_1)
	v_or_b32_e32 v20, v25, v20
	s_wait_alu 0xf1ff
	v_cndmask_b32_e64 v20, v22, v20, s1
	s_delay_alu instid0(VALU_DEP_1) | instskip(NEXT) | instid1(VALU_DEP_1)
	v_and_b32_e32 v22, 7, v20
	v_cmp_lt_i32_e64 s1, 5, v22
	v_cmp_eq_u32_e64 s3, 3, v22
	s_wait_alu 0xfffd
	v_cndmask_b32_e64 v22, 0, 1, vcc_lo
	v_cmp_ne_u32_e32 vcc_lo, 0, v1
	v_add_nc_u32_e32 v1, 0xfffffc10, v7
	s_or_b32 s1, s3, s1
	s_delay_alu instid0(VALU_DEP_3) | instskip(SKIP_1) | instid1(VALU_DEP_3)
	v_or_b32_e32 v13, v13, v22
	v_cmp_ne_u32_e64 s3, 0, v5
	v_lshl_or_b32 v7, v1, 12, v5
	v_cmp_gt_i32_e64 s4, 1, v1
	s_wait_alu 0xf1ff
	s_delay_alu instid0(VALU_DEP_1)
	v_cndmask_b32_e64 v7, v7, v13, s4
	v_lshrrev_b32_e32 v13, 2, v20
	s_wait_alu 0xfffd
	v_cndmask_b32_e64 v20, 0, 1, vcc_lo
	v_cmp_eq_u32_e32 vcc_lo, 0x40f, v8
	v_lshrrev_b32_e32 v5, 2, v7
	s_wait_alu 0xfffe
	v_add_co_ci_u32_e64 v13, s1, 0, v13, s1
	v_cmp_gt_i32_e64 s1, 31, v8
	v_lshl_or_b32 v20, v20, 9, 0x7c00
	s_wait_alu 0xf1ff
	s_delay_alu instid0(VALU_DEP_2) | instskip(SKIP_1) | instid1(VALU_DEP_1)
	v_cndmask_b32_e64 v13, 0x7c00, v13, s1
	s_wait_alu 0xfffd
	v_cndmask_b32_e32 v8, v13, v20, vcc_lo
	v_and_b32_e32 v20, 7, v7
	v_cndmask_b32_e64 v7, 0, 1, s3
	v_lshrrev_b32_e32 v13, 16, v23
	s_delay_alu instid0(VALU_DEP_3) | instskip(SKIP_1) | instid1(VALU_DEP_4)
	v_cmp_lt_i32_e32 vcc_lo, 5, v20
	v_cmp_eq_u32_e64 s1, 3, v20
	v_lshl_or_b32 v7, v7, 9, 0x7c00
	s_delay_alu instid0(VALU_DEP_2) | instskip(SKIP_4) | instid1(VALU_DEP_2)
	s_or_b32 vcc_lo, s1, vcc_lo
	s_wait_alu 0xfffe
	v_add_co_ci_u32_e32 v5, vcc_lo, 0, v5, vcc_lo
	v_cmp_gt_i32_e32 vcc_lo, 31, v1
	s_wait_alu 0xfffd
	v_cndmask_b32_e32 v5, 0x7c00, v5, vcc_lo
	v_cmp_eq_u32_e32 vcc_lo, 0x40f, v1
	s_wait_alu 0xfffd
	s_delay_alu instid0(VALU_DEP_2)
	v_cndmask_b32_e32 v1, v5, v7, vcc_lo
	v_lshrrev_b32_e32 v5, 16, v16
	v_and_or_b32 v7, 0x8000, v13, v8
	v_add_co_u32 v32, vcc_lo, v14, s12
	s_wait_alu 0xfffd
	v_add_co_ci_u32_e32 v33, vcc_lo, s13, v15, vcc_lo
	v_and_or_b32 v1, 0x8000, v5, v1
	v_and_b32_e32 v5, 0xffff, v7
	ds_load_2addr_b32 v[7:8], v153 offset0:92 offset1:173
	v_lshl_or_b32 v1, v1, 16, v5
	global_store_b32 v[14:15], v1, off
	scratch_load_b32 v15, off, off offset:64 th:TH_LOAD_LU ; 4-byte Folded Reload
	s_wait_dscnt 0x0
	v_lshrrev_b32_e32 v23, 16, v7
	v_mul_f16_e32 v1, v40, v7
	s_delay_alu instid0(VALU_DEP_1) | instskip(SKIP_1) | instid1(VALU_DEP_2)
	v_fma_f16 v1, v39, v23, -v1
	v_mul_f16_e32 v23, v40, v23
	v_cvt_f32_f16_e32 v1, v1
	s_delay_alu instid0(VALU_DEP_2) | instskip(NEXT) | instid1(VALU_DEP_2)
	v_fmac_f16_e32 v23, v39, v7
	v_cvt_f64_f32_e32 v[13:14], v1
	s_delay_alu instid0(VALU_DEP_2) | instskip(NEXT) | instid1(VALU_DEP_2)
	v_cvt_f32_f16_e32 v7, v23
	v_mul_f64_e32 v[13:14], s[10:11], v[13:14]
	s_delay_alu instid0(VALU_DEP_1) | instskip(SKIP_3) | instid1(VALU_DEP_4)
	v_and_or_b32 v1, 0x1ff, v14, v13
	v_lshrrev_b32_e32 v5, 8, v14
	v_bfe_u32 v20, v14, 20, 11
	v_lshrrev_b32_e32 v14, 16, v14
	v_cmp_ne_u32_e32 vcc_lo, 0, v1
	s_wait_alu 0xfffd
	v_cndmask_b32_e64 v1, 0, 1, vcc_lo
	s_delay_alu instid0(VALU_DEP_1) | instskip(SKIP_1) | instid1(VALU_DEP_2)
	v_and_or_b32 v1, 0xffe, v5, v1
	v_sub_nc_u32_e32 v5, 0x3f1, v20
	v_or_b32_e32 v13, 0x1000, v1
	s_delay_alu instid0(VALU_DEP_2) | instskip(NEXT) | instid1(VALU_DEP_1)
	v_med3_i32 v5, v5, 0, 13
	v_lshrrev_b32_e32 v22, v5, v13
	s_delay_alu instid0(VALU_DEP_1) | instskip(NEXT) | instid1(VALU_DEP_1)
	v_lshlrev_b32_e32 v5, v5, v22
	v_cmp_ne_u32_e32 vcc_lo, v5, v13
	scratch_load_b32 v13, off, off offset:68 th:TH_LOAD_LU ; 4-byte Folded Reload
	v_lshrrev_b32_e32 v5, 16, v12
	s_wait_loadcnt 0x0
	s_delay_alu instid0(VALU_DEP_1) | instskip(SKIP_1) | instid1(VALU_DEP_2)
	v_mul_f16_e32 v35, v13, v5
	v_mul_f16_e32 v13, v13, v12
	v_fmac_f16_e32 v35, v15, v12
	s_delay_alu instid0(VALU_DEP_2) | instskip(SKIP_1) | instid1(VALU_DEP_1)
	v_fma_f16 v36, v15, v5, -v13
	v_cvt_f32_f16_e32 v5, v24
	v_cvt_f64_f32_e32 v[12:13], v5
	s_delay_alu instid0(VALU_DEP_1) | instskip(NEXT) | instid1(VALU_DEP_1)
	v_mul_f64_e32 v[15:16], s[10:11], v[12:13]
	v_and_or_b32 v5, 0x1ff, v16, v15
	v_lshrrev_b32_e32 v12, 8, v16
	v_bfe_u32 v24, v16, 20, 11
	v_lshrrev_b32_e32 v16, 16, v16
	s_delay_alu instid0(VALU_DEP_4) | instskip(SKIP_1) | instid1(VALU_DEP_1)
	v_cmp_ne_u32_e64 s1, 0, v5
	s_wait_alu 0xf1ff
	v_cndmask_b32_e64 v5, 0, 1, s1
	s_delay_alu instid0(VALU_DEP_1) | instskip(SKIP_1) | instid1(VALU_DEP_2)
	v_and_or_b32 v15, 0xffe, v12, v5
	v_sub_nc_u32_e32 v5, 0x3f1, v24
	v_or_b32_e32 v12, 0x1000, v15
	s_delay_alu instid0(VALU_DEP_2) | instskip(NEXT) | instid1(VALU_DEP_1)
	v_med3_i32 v5, v5, 0, 13
	v_lshrrev_b32_e32 v25, v5, v12
	s_delay_alu instid0(VALU_DEP_1) | instskip(NEXT) | instid1(VALU_DEP_1)
	v_lshlrev_b32_e32 v5, v5, v25
	v_cmp_ne_u32_e64 s1, v5, v12
	v_mul_f16_e32 v5, v38, v29
	s_delay_alu instid0(VALU_DEP_1) | instskip(NEXT) | instid1(VALU_DEP_1)
	v_fmac_f16_e32 v5, v37, v9
	v_cvt_f32_f16_e32 v5, v5
	s_delay_alu instid0(VALU_DEP_1) | instskip(NEXT) | instid1(VALU_DEP_1)
	v_cvt_f64_f32_e32 v[12:13], v5
	v_mul_f64_e32 v[12:13], s[10:11], v[12:13]
	s_delay_alu instid0(VALU_DEP_1) | instskip(SKIP_1) | instid1(VALU_DEP_2)
	v_and_or_b32 v5, 0x1ff, v13, v12
	v_lshrrev_b32_e32 v9, 8, v13
	v_cmp_ne_u32_e64 s3, 0, v5
	s_wait_alu 0xf1ff
	s_delay_alu instid0(VALU_DEP_1) | instskip(NEXT) | instid1(VALU_DEP_1)
	v_cndmask_b32_e64 v5, 0, 1, s3
	v_and_or_b32 v5, 0xffe, v9, v5
	v_bfe_u32 v9, v13, 20, 11
	s_delay_alu instid0(VALU_DEP_2) | instskip(NEXT) | instid1(VALU_DEP_2)
	v_or_b32_e32 v29, 0x1000, v5
	v_sub_nc_u32_e32 v12, 0x3f1, v9
	v_add_nc_u32_e32 v9, 0xfffffc10, v9
	s_delay_alu instid0(VALU_DEP_2) | instskip(NEXT) | instid1(VALU_DEP_1)
	v_med3_i32 v12, v12, 0, 13
	v_lshrrev_b32_e32 v37, v12, v29
	s_delay_alu instid0(VALU_DEP_1) | instskip(NEXT) | instid1(VALU_DEP_1)
	v_lshlrev_b32_e32 v12, v12, v37
	v_cmp_ne_u32_e64 s3, v12, v29
	v_lshl_or_b32 v29, v9, 12, v5
	s_wait_alu 0xf1ff
	s_delay_alu instid0(VALU_DEP_2) | instskip(SKIP_1) | instid1(VALU_DEP_2)
	v_cndmask_b32_e64 v12, 0, 1, s3
	v_cmp_gt_i32_e64 s3, 1, v9
	v_or_b32_e32 v12, v37, v12
	s_wait_alu 0xf1ff
	s_delay_alu instid0(VALU_DEP_1) | instskip(NEXT) | instid1(VALU_DEP_1)
	v_cndmask_b32_e64 v12, v29, v12, s3
	v_and_b32_e32 v29, 7, v12
	v_lshrrev_b32_e32 v12, 2, v12
	s_delay_alu instid0(VALU_DEP_2) | instskip(SKIP_4) | instid1(VALU_DEP_4)
	v_cmp_lt_i32_e64 s3, 5, v29
	v_cmp_eq_u32_e64 s4, 3, v29
	v_cndmask_b32_e64 v29, 0, 1, s0
	v_cmp_ne_u32_e64 s0, 0, v5
	v_add_nc_u32_e32 v5, 0xfffffc10, v26
	s_or_b32 s3, s4, s3
	s_delay_alu instid0(VALU_DEP_3)
	v_or_b32_e32 v28, v28, v29
	s_wait_alu 0xfffe
	v_add_co_ci_u32_e64 v12, s3, 0, v12, s3
	v_lshl_or_b32 v26, v5, 12, v18
	v_cmp_gt_i32_e64 s5, 1, v5
	v_cmp_gt_i32_e64 s3, 31, v9
	v_cmp_ne_u32_e64 s4, 0, v18
	s_wait_alu 0xf1ff
	s_delay_alu instid0(VALU_DEP_3) | instskip(SKIP_4) | instid1(VALU_DEP_4)
	v_cndmask_b32_e64 v26, v26, v28, s5
	v_cndmask_b32_e64 v28, 0, 1, s0
	;; [unrolled: 1-line block ×3, first 2 shown]
	v_cmp_eq_u32_e64 s0, 0x40f, v9
	v_cndmask_b32_e64 v18, 0, 1, s4
	v_lshl_or_b32 v28, v28, 9, 0x7c00
	s_delay_alu instid0(VALU_DEP_2) | instskip(SKIP_1) | instid1(VALU_DEP_2)
	v_lshl_or_b32 v18, v18, 9, 0x7c00
	s_wait_alu 0xf1ff
	v_cndmask_b32_e64 v9, v12, v28, s0
	v_lshrrev_b32_e32 v12, 16, v13
	v_and_b32_e32 v13, 7, v26
	s_delay_alu instid0(VALU_DEP_2) | instskip(NEXT) | instid1(VALU_DEP_2)
	v_and_or_b32 v9, 0x8000, v12, v9
	v_cmp_lt_i32_e64 s0, 5, v13
	v_cmp_eq_u32_e64 s3, 3, v13
	v_lshrrev_b32_e32 v13, 2, v26
	s_delay_alu instid0(VALU_DEP_4) | instskip(NEXT) | instid1(VALU_DEP_3)
	v_and_b32_e32 v9, 0xffff, v9
	s_or_b32 s0, s3, s0
	s_wait_alu 0xfffe
	s_delay_alu instid0(VALU_DEP_2) | instskip(SKIP_2) | instid1(VALU_DEP_1)
	v_add_co_ci_u32_e64 v13, s0, 0, v13, s0
	v_cmp_gt_i32_e64 s0, 31, v5
	s_wait_alu 0xf1ff
	v_cndmask_b32_e64 v13, 0x7c00, v13, s0
	v_cmp_eq_u32_e64 s0, 0x40f, v5
	s_wait_alu 0xf1ff
	s_delay_alu instid0(VALU_DEP_1) | instskip(SKIP_3) | instid1(VALU_DEP_3)
	v_cndmask_b32_e64 v5, v13, v18, s0
	v_lshrrev_b32_e32 v13, 16, v19
	v_cvt_f64_f32_e32 v[18:19], v3
	v_add_co_u32 v12, s0, v32, s12
	v_and_or_b32 v5, 0x8000, v13, v5
	s_wait_alu 0xf1ff
	v_add_co_ci_u32_e64 v13, s0, s13, v33, s0
	s_delay_alu instid0(VALU_DEP_2) | instskip(SKIP_2) | instid1(VALU_DEP_1)
	v_lshl_or_b32 v5, v5, 16, v9
	global_store_b32 v[32:33], v5, off
	v_mul_f64_e32 v[18:19], s[10:11], v[18:19]
	v_and_or_b32 v3, 0x1ff, v19, v18
	v_lshrrev_b32_e32 v5, 8, v19
	s_delay_alu instid0(VALU_DEP_2) | instskip(SKIP_1) | instid1(VALU_DEP_1)
	v_cmp_ne_u32_e64 s0, 0, v3
	s_wait_alu 0xf1ff
	v_cndmask_b32_e64 v3, 0, 1, s0
	s_delay_alu instid0(VALU_DEP_1) | instskip(SKIP_1) | instid1(VALU_DEP_2)
	v_and_or_b32 v3, 0xffe, v5, v3
	v_bfe_u32 v5, v19, 20, 11
	v_or_b32_e32 v18, 0x1000, v3
	s_delay_alu instid0(VALU_DEP_2) | instskip(SKIP_2) | instid1(VALU_DEP_3)
	v_sub_nc_u32_e32 v9, 0x3f1, v5
	v_add_nc_u32_e32 v5, 0xfffffc10, v5
	v_cmp_ne_u32_e64 s3, 0, v3
	v_med3_i32 v9, v9, 0, 13
	s_delay_alu instid0(VALU_DEP_1) | instskip(NEXT) | instid1(VALU_DEP_1)
	v_lshrrev_b32_e32 v26, v9, v18
	v_lshlrev_b32_e32 v9, v9, v26
	s_delay_alu instid0(VALU_DEP_1) | instskip(SKIP_2) | instid1(VALU_DEP_2)
	v_cmp_ne_u32_e64 s0, v9, v18
	v_lshl_or_b32 v18, v5, 12, v3
	s_wait_alu 0xf1ff
	v_cndmask_b32_e64 v9, 0, 1, s0
	v_cmp_gt_i32_e64 s0, 1, v5
	s_delay_alu instid0(VALU_DEP_2) | instskip(SKIP_2) | instid1(VALU_DEP_2)
	v_or_b32_e32 v9, v26, v9
	v_add_nc_u32_e32 v26, 0xfffffc10, v30
	s_wait_alu 0xf1ff
	v_cndmask_b32_e64 v9, v18, v9, s0
	v_cndmask_b32_e64 v18, 0, 1, s2
	s_delay_alu instid0(VALU_DEP_3) | instskip(SKIP_1) | instid1(VALU_DEP_3)
	v_lshl_or_b32 v28, v26, 12, v27
	v_cmp_gt_i32_e64 s0, 1, v26
	v_or_b32_e32 v18, v31, v18
	s_wait_alu 0xf1ff
	s_delay_alu instid0(VALU_DEP_1) | instskip(SKIP_1) | instid1(VALU_DEP_2)
	v_cndmask_b32_e64 v18, v28, v18, s0
	v_and_b32_e32 v28, 7, v9
	v_and_b32_e32 v3, 7, v18
	s_delay_alu instid0(VALU_DEP_2) | instskip(SKIP_1) | instid1(VALU_DEP_3)
	v_cmp_lt_i32_e64 s0, 5, v28
	v_cmp_eq_u32_e64 s2, 3, v28
	v_cmp_lt_i32_e64 s4, 5, v3
	v_cmp_eq_u32_e64 s5, 3, v3
	v_lshrrev_b32_e32 v3, 2, v9
	s_delay_alu instid0(VALU_DEP_4) | instskip(SKIP_1) | instid1(VALU_DEP_3)
	s_or_b32 s0, s2, s0
	v_cndmask_b32_e64 v9, 0, 1, s3
	s_or_b32 s2, s5, s4
	s_wait_alu 0xfffe
	v_add_co_ci_u32_e64 v3, s0, 0, v3, s0
	v_cmp_gt_i32_e64 s0, 31, v5
	v_lshl_or_b32 v9, v9, 9, 0x7c00
	s_wait_alu 0xf1ff
	s_delay_alu instid0(VALU_DEP_2) | instskip(SKIP_3) | instid1(VALU_DEP_2)
	v_cndmask_b32_e64 v3, 0x7c00, v3, s0
	v_cmp_eq_u32_e64 s0, 0x40f, v5
	v_lshrrev_b32_e32 v5, 16, v19
	s_wait_alu 0xf1ff
	v_cndmask_b32_e64 v3, v3, v9, s0
	v_lshrrev_b32_e32 v9, 2, v18
	v_cmp_ne_u32_e64 s0, 0, v27
	s_delay_alu instid0(VALU_DEP_3) | instskip(NEXT) | instid1(VALU_DEP_3)
	v_and_or_b32 v3, 0x8000, v5, v3
	v_add_co_ci_u32_e64 v9, s2, 0, v9, s2
	v_cmp_gt_i32_e64 s2, 31, v26
	s_wait_alu 0xf1ff
	v_cndmask_b32_e64 v18, 0, 1, s0
	v_cmp_eq_u32_e64 s0, 0x40f, v26
	v_and_b32_e32 v3, 0xffff, v3
	v_cndmask_b32_e64 v9, 0x7c00, v9, s2
	s_delay_alu instid0(VALU_DEP_4) | instskip(SKIP_1) | instid1(VALU_DEP_1)
	v_lshl_or_b32 v18, v18, 9, 0x7c00
	s_wait_alu 0xf1ff
	v_cndmask_b32_e64 v9, v9, v18, s0
	v_lshrrev_b32_e32 v18, 16, v21
	v_add_co_u32 v28, s0, v12, s12
	s_wait_alu 0xf1ff
	v_add_co_ci_u32_e64 v29, s0, s13, v13, s0
	s_delay_alu instid0(VALU_DEP_3) | instskip(NEXT) | instid1(VALU_DEP_1)
	v_and_or_b32 v5, 0x8000, v18, v9
	v_lshl_or_b32 v3, v5, 16, v3
	global_store_b32 v[12:13], v3, off
	v_cvt_f32_f16_e32 v3, v34
	s_delay_alu instid0(VALU_DEP_1) | instskip(NEXT) | instid1(VALU_DEP_1)
	v_cvt_f64_f32_e32 v[12:13], v3
	v_mul_f64_e32 v[30:31], s[10:11], v[12:13]
	s_clause 0x1
	scratch_load_b32 v12, off, off offset:56 th:TH_LOAD_LU
	scratch_load_b32 v13, off, off offset:48 th:TH_LOAD_LU
	v_and_or_b32 v3, 0x1ff, v31, v30
	v_lshrrev_b32_e32 v5, 8, v31
	v_bfe_u32 v34, v31, 20, 11
	s_delay_alu instid0(VALU_DEP_3) | instskip(SKIP_1) | instid1(VALU_DEP_1)
	v_cmp_ne_u32_e64 s0, 0, v3
	s_wait_alu 0xf1ff
	v_cndmask_b32_e64 v3, 0, 1, s0
	s_delay_alu instid0(VALU_DEP_1) | instskip(SKIP_1) | instid1(VALU_DEP_2)
	v_and_or_b32 v30, 0xffe, v5, v3
	v_sub_nc_u32_e32 v3, 0x3f1, v34
	v_or_b32_e32 v5, 0x1000, v30
	s_delay_alu instid0(VALU_DEP_2) | instskip(NEXT) | instid1(VALU_DEP_1)
	v_med3_i32 v3, v3, 0, 13
	v_lshrrev_b32_e32 v37, v3, v5
	s_delay_alu instid0(VALU_DEP_1) | instskip(NEXT) | instid1(VALU_DEP_1)
	v_lshlrev_b32_e32 v3, v3, v37
	v_cmp_ne_u32_e64 s4, v3, v5
	scratch_load_b32 v5, off, off offset:60 th:TH_LOAD_LU ; 4-byte Folded Reload
	v_lshrrev_b32_e32 v3, 16, v6
	s_wait_loadcnt 0x0
	s_delay_alu instid0(VALU_DEP_1) | instskip(SKIP_1) | instid1(VALU_DEP_2)
	v_mul_f16_e32 v9, v5, v3
	v_mul_f16_e32 v5, v5, v6
	v_fmac_f16_e32 v9, v12, v6
	s_delay_alu instid0(VALU_DEP_2) | instskip(SKIP_1) | instid1(VALU_DEP_1)
	v_fma_f16 v38, v12, v3, -v5
	v_cvt_f32_f16_e32 v3, v35
	v_cvt_f64_f32_e32 v[5:6], v3
	s_delay_alu instid0(VALU_DEP_1) | instskip(NEXT) | instid1(VALU_DEP_1)
	v_mul_f64_e32 v[18:19], s[10:11], v[5:6]
	v_and_or_b32 v3, 0x1ff, v19, v18
	v_lshrrev_b32_e32 v5, 8, v19
	v_bfe_u32 v21, v19, 20, 11
	s_delay_alu instid0(VALU_DEP_3) | instskip(SKIP_1) | instid1(VALU_DEP_1)
	v_cmp_ne_u32_e64 s0, 0, v3
	s_wait_alu 0xf1ff
	v_cndmask_b32_e64 v3, 0, 1, s0
	s_delay_alu instid0(VALU_DEP_1) | instskip(SKIP_1) | instid1(VALU_DEP_2)
	v_and_or_b32 v3, 0xffe, v5, v3
	v_sub_nc_u32_e32 v5, 0x3f1, v21
	v_or_b32_e32 v6, 0x1000, v3
	s_delay_alu instid0(VALU_DEP_2) | instskip(NEXT) | instid1(VALU_DEP_1)
	v_med3_i32 v5, v5, 0, 13
	v_lshrrev_b32_e32 v26, v5, v6
	s_delay_alu instid0(VALU_DEP_1) | instskip(NEXT) | instid1(VALU_DEP_1)
	v_lshlrev_b32_e32 v5, v5, v26
	v_cmp_ne_u32_e64 s2, v5, v6
	v_cvt_f32_f16_e32 v5, v36
	s_delay_alu instid0(VALU_DEP_1) | instskip(NEXT) | instid1(VALU_DEP_1)
	v_cvt_f64_f32_e32 v[5:6], v5
	v_mul_f64_e32 v[5:6], s[10:11], v[5:6]
	s_delay_alu instid0(VALU_DEP_1) | instskip(SKIP_2) | instid1(VALU_DEP_3)
	v_and_or_b32 v5, 0x1ff, v6, v5
	v_lshrrev_b32_e32 v12, 8, v6
	v_bfe_u32 v27, v6, 20, 11
	v_cmp_ne_u32_e64 s0, 0, v5
	s_wait_alu 0xf1ff
	s_delay_alu instid0(VALU_DEP_1) | instskip(NEXT) | instid1(VALU_DEP_1)
	v_cndmask_b32_e64 v5, 0, 1, s0
	v_and_or_b32 v18, 0xffe, v12, v5
	v_sub_nc_u32_e32 v5, 0x3f1, v27
	s_delay_alu instid0(VALU_DEP_2) | instskip(NEXT) | instid1(VALU_DEP_2)
	v_or_b32_e32 v12, 0x1000, v18
	v_med3_i32 v5, v5, 0, 13
	s_delay_alu instid0(VALU_DEP_1) | instskip(NEXT) | instid1(VALU_DEP_1)
	v_lshrrev_b32_e32 v35, v5, v12
	v_lshlrev_b32_e32 v5, v5, v35
	s_delay_alu instid0(VALU_DEP_1) | instskip(SKIP_3) | instid1(VALU_DEP_1)
	v_cmp_ne_u32_e64 s3, v5, v12
	scratch_load_b32 v12, off, off offset:52 th:TH_LOAD_LU ; 4-byte Folded Reload
	v_lshrrev_b32_e32 v5, 16, v17
	s_wait_loadcnt 0x0
	v_mul_f16_e32 v36, v12, v5
	v_mul_f16_e32 v12, v12, v17
	s_delay_alu instid0(VALU_DEP_2) | instskip(NEXT) | instid1(VALU_DEP_2)
	v_fmac_f16_e32 v36, v13, v17
	v_fma_f16 v17, v13, v5, -v12
	v_cvt_f32_f16_e32 v5, v9
	s_delay_alu instid0(VALU_DEP_1) | instskip(NEXT) | instid1(VALU_DEP_1)
	v_cvt_f64_f32_e32 v[12:13], v5
	v_mul_f64_e32 v[12:13], s[10:11], v[12:13]
	s_delay_alu instid0(VALU_DEP_1) | instskip(SKIP_1) | instid1(VALU_DEP_2)
	v_and_or_b32 v5, 0x1ff, v13, v12
	v_lshrrev_b32_e32 v9, 8, v13
	v_cmp_ne_u32_e64 s0, 0, v5
	s_wait_alu 0xf1ff
	s_delay_alu instid0(VALU_DEP_1) | instskip(NEXT) | instid1(VALU_DEP_1)
	v_cndmask_b32_e64 v5, 0, 1, s0
	v_and_or_b32 v5, 0xffe, v9, v5
	v_bfe_u32 v9, v13, 20, 11
	s_delay_alu instid0(VALU_DEP_2) | instskip(NEXT) | instid1(VALU_DEP_2)
	v_or_b32_e32 v33, 0x1000, v5
	v_sub_nc_u32_e32 v12, 0x3f1, v9
	v_add_nc_u32_e32 v9, 0xfffffc10, v9
	s_delay_alu instid0(VALU_DEP_2) | instskip(NEXT) | instid1(VALU_DEP_1)
	v_med3_i32 v32, v12, 0, 13
	v_lshrrev_b32_e32 v12, v32, v33
	s_delay_alu instid0(VALU_DEP_1) | instskip(NEXT) | instid1(VALU_DEP_1)
	v_lshlrev_b32_e32 v32, v32, v12
	v_cmp_ne_u32_e64 s0, v32, v33
	v_cvt_f64_f32_e32 v[32:33], v7
	s_delay_alu instid0(VALU_DEP_1) | instskip(NEXT) | instid1(VALU_DEP_1)
	v_mul_f64_e32 v[32:33], s[10:11], v[32:33]
	v_and_or_b32 v7, 0x1ff, v33, v32
	v_lshrrev_b32_e32 v23, 8, v33
	s_delay_alu instid0(VALU_DEP_2) | instskip(SKIP_1) | instid1(VALU_DEP_1)
	v_cmp_ne_u32_e64 s5, 0, v7
	s_wait_alu 0xf1ff
	v_cndmask_b32_e64 v7, 0, 1, s5
	s_delay_alu instid0(VALU_DEP_1) | instskip(SKIP_1) | instid1(VALU_DEP_2)
	v_and_or_b32 v7, 0xffe, v23, v7
	v_bfe_u32 v23, v33, 20, 11
	v_or_b32_e32 v39, 0x1000, v7
	s_delay_alu instid0(VALU_DEP_2) | instskip(SKIP_1) | instid1(VALU_DEP_2)
	v_sub_nc_u32_e32 v32, 0x3f1, v23
	v_add_nc_u32_e32 v23, 0xfffffc10, v23
	v_med3_i32 v32, v32, 0, 13
	s_delay_alu instid0(VALU_DEP_1) | instskip(NEXT) | instid1(VALU_DEP_1)
	v_lshrrev_b32_e32 v40, v32, v39
	v_lshlrev_b32_e32 v32, v32, v40
	s_delay_alu instid0(VALU_DEP_1) | instskip(SKIP_2) | instid1(VALU_DEP_2)
	v_cmp_ne_u32_e64 s5, v32, v39
	v_lshl_or_b32 v39, v23, 12, v7
	s_wait_alu 0xf1ff
	v_cndmask_b32_e64 v32, 0, 1, s5
	v_cmp_gt_i32_e64 s5, 1, v23
	s_delay_alu instid0(VALU_DEP_2) | instskip(SKIP_1) | instid1(VALU_DEP_1)
	v_or_b32_e32 v32, v40, v32
	s_wait_alu 0xf1ff
	v_cndmask_b32_e64 v32, v39, v32, s5
	s_delay_alu instid0(VALU_DEP_1) | instskip(NEXT) | instid1(VALU_DEP_1)
	v_and_b32_e32 v39, 7, v32
	v_cmp_lt_i32_e64 s5, 5, v39
	v_cmp_eq_u32_e64 s6, 3, v39
	s_wait_alu 0xfffd
	v_cndmask_b32_e64 v39, 0, 1, vcc_lo
	v_cmp_ne_u32_e32 vcc_lo, 0, v7
	v_add_nc_u32_e32 v7, 0xfffffc10, v20
	s_or_b32 s5, s6, s5
	s_delay_alu instid0(VALU_DEP_3) | instskip(SKIP_1) | instid1(VALU_DEP_3)
	v_or_b32_e32 v22, v22, v39
	v_cmp_ne_u32_e64 s6, 0, v1
	v_lshl_or_b32 v20, v7, 12, v1
	v_cmp_gt_i32_e64 s7, 1, v7
	v_lshrrev_b32_e32 v1, 16, v33
	s_wait_alu 0xf1ff
	s_delay_alu instid0(VALU_DEP_2)
	v_cndmask_b32_e64 v20, v20, v22, s7
	v_lshrrev_b32_e32 v22, 2, v32
	s_wait_alu 0xfffd
	v_cndmask_b32_e64 v32, 0, 1, vcc_lo
	v_cmp_eq_u32_e32 vcc_lo, 0x40f, v23
	s_wait_alu 0xfffe
	v_add_co_ci_u32_e64 v22, s5, 0, v22, s5
	v_cmp_gt_i32_e64 s5, 31, v23
	v_lshl_or_b32 v32, v32, 9, 0x7c00
	v_and_b32_e32 v23, 7, v20
	v_lshrrev_b32_e32 v20, 2, v20
	s_wait_alu 0xf1ff
	v_cndmask_b32_e64 v22, 0x7c00, v22, s5
	s_delay_alu instid0(VALU_DEP_3) | instskip(SKIP_1) | instid1(VALU_DEP_2)
	v_cmp_eq_u32_e64 s5, 3, v23
	s_wait_alu 0xfffd
	v_cndmask_b32_e32 v22, v22, v32, vcc_lo
	v_cmp_lt_i32_e32 vcc_lo, 5, v23
	v_cndmask_b32_e64 v23, 0, 1, s6
	s_delay_alu instid0(VALU_DEP_3) | instskip(SKIP_1) | instid1(VALU_DEP_2)
	v_and_or_b32 v1, 0x8000, v1, v22
	s_or_b32 vcc_lo, s5, vcc_lo
	v_lshl_or_b32 v23, v23, 9, 0x7c00
	s_wait_alu 0xfffe
	v_add_co_ci_u32_e32 v20, vcc_lo, 0, v20, vcc_lo
	v_cmp_gt_i32_e32 vcc_lo, 31, v7
	v_and_b32_e32 v1, 0xffff, v1
	s_wait_alu 0xfffd
	s_delay_alu instid0(VALU_DEP_3) | instskip(SKIP_2) | instid1(VALU_DEP_2)
	v_cndmask_b32_e32 v20, 0x7c00, v20, vcc_lo
	v_cmp_eq_u32_e32 vcc_lo, 0x40f, v7
	s_wait_alu 0xfffd
	v_dual_cndmask_b32 v7, v20, v23 :: v_dual_add_nc_u32 v20, 0xfffffc10, v24
	scratch_load_b32 v24, off, off offset:44 th:TH_LOAD_LU ; 4-byte Folded Reload
	v_and_or_b32 v7, 0x8000, v14, v7
	v_cndmask_b32_e64 v14, 0, 1, s1
	v_lshl_or_b32 v22, v20, 12, v15
	v_cmp_gt_i32_e32 vcc_lo, 1, v20
	s_delay_alu instid0(VALU_DEP_4) | instskip(NEXT) | instid1(VALU_DEP_4)
	v_lshl_or_b32 v1, v7, 16, v1
	v_or_b32_e32 v14, v25, v14
	scratch_load_b32 v25, off, off offset:40 th:TH_LOAD_LU ; 4-byte Folded Reload
	global_store_b32 v[28:29], v1, off
	s_wait_alu 0xfffd
	v_cndmask_b32_e32 v14, v22, v14, vcc_lo
	s_delay_alu instid0(VALU_DEP_1) | instskip(SKIP_1) | instid1(VALU_DEP_2)
	v_and_b32_e32 v7, 7, v14
	v_lshrrev_b32_e32 v14, 2, v14
	v_cmp_lt_i32_e32 vcc_lo, 5, v7
	v_cmp_eq_u32_e64 s1, 3, v7
	v_cndmask_b32_e64 v7, 0, 1, s4
	v_cmp_ne_u32_e64 s4, 0, v15
	v_add_nc_u32_e32 v15, 0xfffffc10, v34
	s_delay_alu instid0(VALU_DEP_4) | instskip(NEXT) | instid1(VALU_DEP_3)
	s_or_b32 vcc_lo, s1, vcc_lo
	v_or_b32_e32 v7, v37, v7
	s_wait_alu 0xfffe
	v_add_co_ci_u32_e32 v14, vcc_lo, 0, v14, vcc_lo
	v_lshl_or_b32 v22, v15, 12, v30
	v_cmp_gt_i32_e64 s5, 1, v15
	v_cmp_gt_i32_e32 vcc_lo, 31, v20
	s_wait_alu 0xf1ff
	s_delay_alu instid0(VALU_DEP_2)
	v_cndmask_b32_e64 v7, v22, v7, s5
	v_cndmask_b32_e64 v22, 0, 1, s4
	s_wait_alu 0xfffd
	v_cndmask_b32_e32 v14, 0x7c00, v14, vcc_lo
	v_cmp_eq_u32_e32 vcc_lo, 0x40f, v20
	v_cmp_ne_u32_e64 s4, 0, v30
	v_and_b32_e32 v20, 7, v7
	v_lshl_or_b32 v22, v22, 9, 0x7c00
	v_lshrrev_b32_e32 v7, 2, v7
	s_delay_alu instid0(VALU_DEP_3) | instskip(SKIP_1) | instid1(VALU_DEP_3)
	v_cmp_eq_u32_e64 s1, 3, v20
	s_wait_alu 0xfffd
	v_cndmask_b32_e32 v14, v14, v22, vcc_lo
	v_cmp_lt_i32_e32 vcc_lo, 5, v20
	s_wait_alu 0xf1ff
	v_cndmask_b32_e64 v20, 0, 1, s4
	s_delay_alu instid0(VALU_DEP_3) | instskip(SKIP_1) | instid1(VALU_DEP_2)
	v_and_or_b32 v14, 0x8000, v16, v14
	s_or_b32 vcc_lo, s1, vcc_lo
	v_lshl_or_b32 v20, v20, 9, 0x7c00
	s_wait_alu 0xfffe
	v_add_co_ci_u32_e32 v7, vcc_lo, 0, v7, vcc_lo
	v_cmp_gt_i32_e32 vcc_lo, 31, v15
	s_wait_alu 0xfffd
	s_delay_alu instid0(VALU_DEP_2) | instskip(SKIP_3) | instid1(VALU_DEP_3)
	v_cndmask_b32_e32 v7, 0x7c00, v7, vcc_lo
	v_cmp_eq_u32_e32 vcc_lo, 0x40f, v15
	v_lshrrev_b32_e32 v15, 16, v31
	s_wait_alu 0xfffd
	v_cndmask_b32_e32 v7, v7, v20, vcc_lo
	s_delay_alu instid0(VALU_DEP_1)
	v_and_or_b32 v1, 0x8000, v15, v7
	v_and_b32_e32 v7, 0xffff, v14
	v_mad_co_u64_u32 v[14:15], null, 0xffffdf18, s8, v[28:29]
	scratch_load_b32 v29, off, off offset:12 th:TH_LOAD_LU ; 4-byte Folded Reload
	v_lshl_or_b32 v1, v1, 16, v7
	v_add_nc_u32_e32 v15, s9, v15
	global_store_b32 v[14:15], v1, off
	v_cvt_f32_f16_e32 v1, v38
	v_add_co_u32 v14, vcc_lo, v14, s12
	s_wait_alu 0xfffd
	v_add_co_ci_u32_e32 v15, vcc_lo, s13, v15, vcc_lo
	s_delay_alu instid0(VALU_DEP_3) | instskip(NEXT) | instid1(VALU_DEP_1)
	v_cvt_f64_f32_e32 v[22:23], v1
	v_mul_f64_e32 v[22:23], s[10:11], v[22:23]
	s_delay_alu instid0(VALU_DEP_1) | instskip(SKIP_3) | instid1(VALU_DEP_4)
	v_and_or_b32 v1, 0x1ff, v23, v22
	v_lshrrev_b32_e32 v7, 8, v23
	v_bfe_u32 v16, v23, 20, 11
	v_lshrrev_b32_e32 v23, 16, v23
	v_cmp_ne_u32_e32 vcc_lo, 0, v1
	s_wait_alu 0xfffd
	v_cndmask_b32_e64 v1, 0, 1, vcc_lo
	s_delay_alu instid0(VALU_DEP_1) | instskip(SKIP_1) | instid1(VALU_DEP_2)
	v_and_or_b32 v1, 0xffe, v7, v1
	v_sub_nc_u32_e32 v7, 0x3f1, v16
	v_or_b32_e32 v20, 0x1000, v1
	s_delay_alu instid0(VALU_DEP_2) | instskip(NEXT) | instid1(VALU_DEP_1)
	v_med3_i32 v7, v7, 0, 13
	v_lshrrev_b32_e32 v22, v7, v20
	s_delay_alu instid0(VALU_DEP_1) | instskip(NEXT) | instid1(VALU_DEP_1)
	v_lshlrev_b32_e32 v7, v7, v22
	v_cmp_ne_u32_e32 vcc_lo, v7, v20
	v_lshrrev_b32_e32 v7, 16, v4
	s_wait_loadcnt 0x2
	s_delay_alu instid0(VALU_DEP_1) | instskip(SKIP_2) | instid1(VALU_DEP_2)
	v_mul_f16_e32 v20, v24, v7
	v_mul_f16_e32 v24, v24, v4
	s_wait_loadcnt 0x1
	v_fmac_f16_e32 v20, v25, v4
	v_cvt_f32_f16_e32 v4, v36
	s_delay_alu instid0(VALU_DEP_3) | instskip(NEXT) | instid1(VALU_DEP_2)
	v_fma_f16 v28, v25, v7, -v24
	v_cvt_f64_f32_e32 v[24:25], v4
	s_delay_alu instid0(VALU_DEP_1) | instskip(NEXT) | instid1(VALU_DEP_1)
	v_mul_f64_e32 v[24:25], s[10:11], v[24:25]
	v_and_or_b32 v4, 0x1ff, v25, v24
	v_lshrrev_b32_e32 v7, 8, v25
	s_delay_alu instid0(VALU_DEP_2) | instskip(SKIP_1) | instid1(VALU_DEP_1)
	v_cmp_ne_u32_e64 s1, 0, v4
	s_wait_alu 0xf1ff
	v_cndmask_b32_e64 v4, 0, 1, s1
	s_delay_alu instid0(VALU_DEP_1) | instskip(SKIP_2) | instid1(VALU_DEP_2)
	v_and_or_b32 v24, 0xffe, v7, v4
	v_cndmask_b32_e64 v4, 0, 1, s2
	v_add_nc_u32_e32 v7, 0xfffffc10, v21
	v_or_b32_e32 v4, v26, v4
	s_delay_alu instid0(VALU_DEP_2) | instskip(SKIP_3) | instid1(VALU_DEP_2)
	v_lshl_or_b32 v21, v7, 12, v3
	v_cmp_gt_i32_e64 s1, 1, v7
	v_add_nc_u32_e32 v26, 0xfffffc10, v27
	s_wait_alu 0xf1ff
	v_cndmask_b32_e64 v4, v21, v4, s1
	v_cndmask_b32_e64 v21, 0, 1, s3
	s_delay_alu instid0(VALU_DEP_3) | instskip(SKIP_2) | instid1(VALU_DEP_4)
	v_lshl_or_b32 v27, v26, 12, v18
	v_cmp_gt_i32_e64 s1, 1, v26
	v_cmp_ne_u32_e64 s3, 0, v3
	v_or_b32_e32 v21, v35, v21
	s_wait_alu 0xf1ff
	s_delay_alu instid0(VALU_DEP_1) | instskip(SKIP_1) | instid1(VALU_DEP_2)
	v_cndmask_b32_e64 v21, v27, v21, s1
	v_and_b32_e32 v27, 7, v4
	v_and_b32_e32 v3, 7, v21
	s_delay_alu instid0(VALU_DEP_2) | instskip(SKIP_2) | instid1(VALU_DEP_4)
	v_cmp_lt_i32_e64 s1, 5, v27
	v_cmp_eq_u32_e64 s2, 3, v27
	v_lshrrev_b32_e32 v27, 16, v19
	v_cmp_lt_i32_e64 s4, 5, v3
	v_cmp_eq_u32_e64 s5, 3, v3
	v_lshrrev_b32_e32 v3, 2, v4
	s_or_b32 s1, s2, s1
	v_cndmask_b32_e64 v4, 0, 1, s3
	s_delay_alu instid0(VALU_DEP_3)
	s_or_b32 s2, s5, s4
	s_wait_alu 0xfffe
	v_add_co_ci_u32_e64 v3, s1, 0, v3, s1
	v_cmp_gt_i32_e64 s1, 31, v7
	v_lshl_or_b32 v4, v4, 9, 0x7c00
	s_wait_alu 0xf1ff
	s_delay_alu instid0(VALU_DEP_2) | instskip(SKIP_2) | instid1(VALU_DEP_1)
	v_cndmask_b32_e64 v3, 0x7c00, v3, s1
	v_cmp_eq_u32_e64 s1, 0x40f, v7
	s_wait_alu 0xf1ff
	v_cndmask_b32_e64 v7, v3, v4, s1
	v_lshrrev_b32_e32 v3, 2, v21
	v_cmp_ne_u32_e64 s1, 0, v18
	v_cvt_f32_f16_e32 v18, v20
	v_bfe_u32 v21, v25, 20, 11
	v_lshrrev_b32_e32 v25, 16, v25
	v_add_co_ci_u32_e64 v3, s2, 0, v3, s2
	v_cmp_gt_i32_e64 s2, 31, v26
	s_wait_alu 0xf1ff
	v_cndmask_b32_e64 v4, 0, 1, s1
	v_cmp_eq_u32_e64 s1, 0x40f, v26
	s_delay_alu instid0(VALU_DEP_3) | instskip(NEXT) | instid1(VALU_DEP_3)
	v_cndmask_b32_e64 v3, 0x7c00, v3, s2
	v_lshl_or_b32 v4, v4, 9, 0x7c00
	s_wait_alu 0xf1ff
	s_delay_alu instid0(VALU_DEP_1) | instskip(SKIP_1) | instid1(VALU_DEP_1)
	v_cndmask_b32_e64 v20, v3, v4, s1
	v_cvt_f64_f32_e32 v[3:4], v18
	v_mul_f64_e32 v[18:19], s[10:11], v[3:4]
	v_lshrrev_b32_e32 v3, 16, v6
	v_sub_nc_u32_e32 v6, 0x3f1, v21
	v_and_or_b32 v4, 0x8000, v27, v7
	v_or_b32_e32 v7, 0x1000, v24
	scratch_load_b32 v27, off, off offset:32 th:TH_LOAD_LU ; 4-byte Folded Reload
	v_and_or_b32 v3, 0x8000, v3, v20
	v_med3_i32 v6, v6, 0, 13
	v_and_b32_e32 v4, 0xffff, v4
	v_add_nc_u32_e32 v21, 0xfffffc10, v21
	s_delay_alu instid0(VALU_DEP_3) | instskip(NEXT) | instid1(VALU_DEP_3)
	v_lshrrev_b32_e32 v20, v6, v7
	v_lshl_or_b32 v3, v3, 16, v4
	s_delay_alu instid0(VALU_DEP_2)
	v_lshlrev_b32_e32 v4, v6, v20
	global_store_b32 v[14:15], v3, off
	v_add_co_u32 v3, s2, v14, s12
	v_lshrrev_b32_e32 v6, 16, v11
	v_cmp_ne_u32_e64 s1, v4, v7
	s_wait_alu 0xf1ff
	v_add_co_ci_u32_e64 v4, s2, s13, v15, s2
	scratch_load_b32 v15, off, off offset:36 th:TH_LOAD_LU ; 4-byte Folded Reload
	v_and_or_b32 v7, 0x1ff, v19, v18
	v_bfe_u32 v18, v19, 20, 11
	s_delay_alu instid0(VALU_DEP_2) | instskip(SKIP_1) | instid1(VALU_DEP_1)
	v_cmp_ne_u32_e64 s2, 0, v7
	s_wait_alu 0xf1ff
	v_cndmask_b32_e64 v7, 0, 1, s2
	s_wait_loadcnt 0x0
	v_mul_f16_e32 v14, v15, v6
	v_mul_f16_e32 v15, v15, v11
	s_delay_alu instid0(VALU_DEP_2) | instskip(SKIP_1) | instid1(VALU_DEP_3)
	v_fmac_f16_e32 v14, v27, v11
	v_lshrrev_b32_e32 v11, 8, v19
	v_fma_f16 v15, v27, v6, -v15
	s_delay_alu instid0(VALU_DEP_3) | instskip(NEXT) | instid1(VALU_DEP_3)
	v_cvt_f32_f16_e32 v14, v14
	v_and_or_b32 v26, 0xffe, v11, v7
	v_sub_nc_u32_e32 v7, 0x3f1, v18
	v_cvt_f32_f16_e32 v11, v17
	v_add_nc_u32_e32 v18, 0xfffffc10, v18
	s_delay_alu instid0(VALU_DEP_3) | instskip(SKIP_1) | instid1(VALU_DEP_1)
	v_med3_i32 v6, v7, 0, 13
	v_or_b32_e32 v7, 0x1000, v26
	v_lshrrev_b32_e32 v27, v6, v7
	s_delay_alu instid0(VALU_DEP_1) | instskip(NEXT) | instid1(VALU_DEP_1)
	v_lshlrev_b32_e32 v6, v6, v27
	v_cmp_ne_u32_e64 s2, v6, v7
	v_cvt_f64_f32_e32 v[6:7], v11
	s_delay_alu instid0(VALU_DEP_1) | instskip(NEXT) | instid1(VALU_DEP_1)
	v_mul_f64_e32 v[6:7], s[10:11], v[6:7]
	v_and_or_b32 v6, 0x1ff, v7, v6
	v_lshrrev_b32_e32 v11, 8, v7
	s_delay_alu instid0(VALU_DEP_2) | instskip(SKIP_1) | instid1(VALU_DEP_1)
	v_cmp_ne_u32_e64 s3, 0, v6
	s_wait_alu 0xf1ff
	v_cndmask_b32_e64 v6, 0, 1, s3
	s_delay_alu instid0(VALU_DEP_1) | instskip(SKIP_3) | instid1(VALU_DEP_3)
	v_and_or_b32 v17, 0xffe, v11, v6
	v_cndmask_b32_e64 v6, 0, 1, s0
	v_lshl_or_b32 v11, v9, 12, v5
	v_cmp_gt_i32_e64 s0, 1, v9
	v_or_b32_e32 v6, v12, v6
	s_wait_alu 0xf1ff
	s_delay_alu instid0(VALU_DEP_1) | instskip(SKIP_1) | instid1(VALU_DEP_1)
	v_cndmask_b32_e64 v6, v11, v6, s0
	v_cvt_f32_f16_e32 v11, v28
	v_cvt_f64_f32_e32 v[11:12], v11
	s_delay_alu instid0(VALU_DEP_1) | instskip(NEXT) | instid1(VALU_DEP_1)
	v_mul_f64_e32 v[11:12], s[10:11], v[11:12]
	v_and_or_b32 v11, 0x1ff, v12, v11
	v_lshrrev_b32_e32 v28, 8, v12
	s_delay_alu instid0(VALU_DEP_2) | instskip(SKIP_1) | instid1(VALU_DEP_1)
	v_cmp_ne_u32_e64 s0, 0, v11
	s_wait_alu 0xf1ff
	v_cndmask_b32_e64 v11, 0, 1, s0
	s_delay_alu instid0(VALU_DEP_1) | instskip(SKIP_2) | instid1(VALU_DEP_2)
	v_and_or_b32 v11, 0xffe, v28, v11
	v_and_b32_e32 v28, 7, v6
	v_lshrrev_b32_e32 v6, 2, v6
	v_cmp_lt_i32_e64 s0, 5, v28
	v_cmp_eq_u32_e64 s3, 3, v28
	s_wait_alu 0xfffd
	v_cndmask_b32_e64 v28, 0, 1, vcc_lo
	v_cmp_ne_u32_e32 vcc_lo, 0, v5
	v_add_nc_u32_e32 v5, 0xfffffc10, v16
	s_or_b32 s0, s3, s0
	s_delay_alu instid0(VALU_DEP_3)
	v_or_b32_e32 v22, v22, v28
	s_wait_alu 0xfffe
	v_add_co_ci_u32_e64 v6, s0, 0, v6, s0
	v_lshl_or_b32 v16, v5, 12, v1
	v_cmp_gt_i32_e64 s4, 1, v5
	v_cmp_gt_i32_e64 s0, 31, v9
	s_wait_alu 0xf1ff
	s_delay_alu instid0(VALU_DEP_2)
	v_cndmask_b32_e64 v16, v16, v22, s4
	s_wait_alu 0xfffd
	v_cndmask_b32_e64 v22, 0, 1, vcc_lo
	v_cndmask_b32_e64 v6, 0x7c00, v6, s0
	v_cmp_eq_u32_e32 vcc_lo, 0x40f, v9
	v_lshrrev_b32_e32 v9, 16, v13
	v_and_b32_e32 v13, 7, v16
	v_lshl_or_b32 v22, v22, 9, 0x7c00
	v_lshrrev_b32_e32 v16, 2, v16
	s_delay_alu instid0(VALU_DEP_3) | instskip(SKIP_1) | instid1(VALU_DEP_3)
	v_cmp_eq_u32_e64 s0, 3, v13
	s_wait_alu 0xfffd
	v_cndmask_b32_e32 v6, v6, v22, vcc_lo
	v_cmp_lt_i32_e32 vcc_lo, 5, v13
	v_bfe_u32 v13, v7, 20, 11
	v_or_b32_e32 v22, 0x1000, v17
	v_lshrrev_b32_e32 v7, 16, v7
	v_and_or_b32 v9, 0x8000, v9, v6
	s_or_b32 vcc_lo, s0, vcc_lo
	v_sub_nc_u32_e32 v6, 0x3f1, v13
	s_wait_alu 0xfffe
	v_add_co_ci_u32_e32 v16, vcc_lo, 0, v16, vcc_lo
	v_cmp_ne_u32_e32 vcc_lo, 0, v1
	v_and_b32_e32 v9, 0xffff, v9
	v_med3_i32 v6, v6, 0, 13
	s_wait_alu 0xfffd
	v_cndmask_b32_e64 v1, 0, 1, vcc_lo
	v_cmp_gt_i32_e32 vcc_lo, 31, v5
	s_delay_alu instid0(VALU_DEP_2)
	v_lshl_or_b32 v1, v1, 9, 0x7c00
	s_wait_alu 0xfffd
	v_cndmask_b32_e32 v16, 0x7c00, v16, vcc_lo
	v_cmp_eq_u32_e32 vcc_lo, 0x40f, v5
	v_cndmask_b32_e64 v5, 0, 1, s1
	s_wait_alu 0xfffd
	s_delay_alu instid0(VALU_DEP_3) | instskip(SKIP_1) | instid1(VALU_DEP_3)
	v_cndmask_b32_e32 v1, v16, v1, vcc_lo
	v_lshrrev_b32_e32 v16, v6, v22
	v_or_b32_e32 v20, v20, v5
	s_delay_alu instid0(VALU_DEP_3) | instskip(NEXT) | instid1(VALU_DEP_3)
	v_and_or_b32 v1, 0x8000, v23, v1
	v_lshlrev_b32_e32 v28, v6, v16
	v_cvt_f64_f32_e32 v[5:6], v14
	v_bfe_u32 v23, v12, 20, 11
	s_delay_alu instid0(VALU_DEP_4) | instskip(NEXT) | instid1(VALU_DEP_4)
	v_lshl_or_b32 v1, v1, 16, v9
	v_cmp_ne_u32_e32 vcc_lo, v28, v22
	v_add_nc_u32_e32 v22, 0xfffffc10, v13
	v_lshl_or_b32 v13, v21, 12, v24
	v_or_b32_e32 v28, 0x1000, v11
	global_store_b32 v[3:4], v1, off
	s_wait_alu 0xfffd
	v_cndmask_b32_e64 v14, 0, 1, vcc_lo
	v_cmp_gt_i32_e32 vcc_lo, 1, v21
	s_delay_alu instid0(VALU_DEP_2)
	v_or_b32_e32 v14, v16, v14
	v_lshl_or_b32 v16, v22, 12, v17
	s_wait_alu 0xfffd
	v_cndmask_b32_e32 v13, v13, v20, vcc_lo
	v_cmp_gt_i32_e32 vcc_lo, 1, v22
	v_sub_nc_u32_e32 v20, 0x3f1, v23
	s_wait_alu 0xfffd
	v_cndmask_b32_e32 v16, v16, v14, vcc_lo
	v_and_b32_e32 v14, 7, v13
	v_lshrrev_b32_e32 v13, 2, v13
	v_med3_i32 v20, v20, 0, 13
	s_delay_alu instid0(VALU_DEP_4) | instskip(NEXT) | instid1(VALU_DEP_4)
	v_and_b32_e32 v9, 7, v16
	v_cmp_lt_i32_e32 vcc_lo, 5, v14
	v_cmp_eq_u32_e64 s0, 3, v14
	v_cvt_f32_f16_e32 v14, v15
	s_delay_alu instid0(VALU_DEP_4) | instskip(SKIP_1) | instid1(VALU_DEP_4)
	v_cmp_lt_i32_e64 s1, 5, v9
	v_cmp_eq_u32_e64 s3, 3, v9
	s_or_b32 vcc_lo, s0, vcc_lo
	s_wait_alu 0xfffe
	v_add_co_ci_u32_e32 v9, vcc_lo, 0, v13, vcc_lo
	v_cmp_ne_u32_e32 vcc_lo, 0, v24
	v_lshrrev_b32_e32 v24, v20, v28
	v_mul_f64_e32 v[5:6], s[10:11], v[5:6]
	s_wait_alu 0xfffd
	v_cndmask_b32_e64 v13, 0, 1, vcc_lo
	v_cmp_gt_i32_e32 vcc_lo, 31, v21
	v_lshlrev_b32_e32 v20, v20, v24
	s_delay_alu instid0(VALU_DEP_3)
	v_lshl_or_b32 v15, v13, 9, 0x7c00
	s_wait_alu 0xfffd
	v_cndmask_b32_e32 v9, 0x7c00, v9, vcc_lo
	v_cmp_eq_u32_e32 vcc_lo, 0x40f, v21
	v_lshl_or_b32 v21, v18, 12, v26
	v_cvt_f64_f32_e32 v[13:14], v14
	s_wait_alu 0xfffd
	v_cndmask_b32_e32 v9, v9, v15, vcc_lo
	v_lshrrev_b32_e32 v15, 2, v16
	s_or_b32 vcc_lo, s3, s1
	v_cndmask_b32_e64 v16, 0, 1, s2
	s_delay_alu instid0(VALU_DEP_3)
	v_and_or_b32 v9, 0x8000, v25, v9
	s_wait_alu 0xfffe
	v_add_co_ci_u32_e32 v15, vcc_lo, 0, v15, vcc_lo
	v_cmp_ne_u32_e32 vcc_lo, 0, v17
	v_or_b32_e32 v16, v27, v16
	scratch_load_b32 v27, off, off offset:24 th:TH_LOAD_LU ; 4-byte Folded Reload
	v_and_b32_e32 v9, 0xffff, v9
	s_wait_alu 0xfffd
	v_cndmask_b32_e64 v17, 0, 1, vcc_lo
	v_cmp_gt_i32_e32 vcc_lo, 31, v22
	s_delay_alu instid0(VALU_DEP_2)
	v_lshl_or_b32 v17, v17, 9, 0x7c00
	s_wait_alu 0xfffd
	v_cndmask_b32_e32 v15, 0x7c00, v15, vcc_lo
	v_cmp_gt_i32_e32 vcc_lo, 1, v18
	v_and_or_b32 v1, 0x1ff, v6, v5
	s_wait_alu 0xfffd
	v_cndmask_b32_e32 v16, v21, v16, vcc_lo
	v_cmp_eq_u32_e32 vcc_lo, 0x40f, v22
	s_delay_alu instid0(VALU_DEP_3) | instskip(NEXT) | instid1(VALU_DEP_3)
	v_cmp_ne_u32_e64 s1, 0, v1
	v_and_b32_e32 v21, 7, v16
	s_wait_alu 0xfffd
	v_cndmask_b32_e32 v15, v15, v17, vcc_lo
	v_cmp_ne_u32_e32 vcc_lo, v20, v28
	v_add_nc_u32_e32 v20, 0xfffffc10, v23
	v_lshrrev_b32_e32 v16, 2, v16
	v_mul_f64_e32 v[13:14], s[10:11], v[13:14]
	v_and_or_b32 v7, 0x8000, v7, v15
	s_wait_alu 0xfffd
	v_cndmask_b32_e64 v17, 0, 1, vcc_lo
	v_lshl_or_b32 v22, v20, 12, v11
	v_cmp_gt_i32_e64 s0, 1, v20
	v_cmp_lt_i32_e32 vcc_lo, 5, v21
	s_wait_alu 0xf1ff
	v_cndmask_b32_e64 v1, 0, 1, s1
	v_or_b32_e32 v17, v24, v17
	scratch_load_b32 v24, off, off offset:28 th:TH_LOAD_LU ; 4-byte Folded Reload
	v_lshl_or_b32 v7, v7, 16, v9
	scratch_load_b32 v28, off, off offset:8 th:TH_LOAD_LU ; 4-byte Folded Reload
	v_cndmask_b32_e64 v15, v22, v17, s0
	v_lshrrev_b32_e32 v17, 16, v0
	v_cmp_eq_u32_e64 s0, 3, v21
	v_bfe_u32 v22, v6, 20, 11
	s_delay_alu instid0(VALU_DEP_4) | instskip(SKIP_1) | instid1(VALU_DEP_4)
	v_and_b32_e32 v5, 7, v15
	v_lshrrev_b32_e32 v15, 2, v15
	s_or_b32 vcc_lo, s0, vcc_lo
	s_delay_alu instid0(VALU_DEP_3)
	v_sub_nc_u32_e32 v25, 0x3f1, v22
	s_wait_alu 0xfffe
	v_add_co_ci_u32_e32 v16, vcc_lo, 0, v16, vcc_lo
	v_cmp_lt_i32_e64 s1, 5, v5
	v_cmp_eq_u32_e64 s2, 3, v5
	v_lshrrev_b32_e32 v5, 8, v6
	v_cmp_ne_u32_e32 vcc_lo, 0, v26
	v_med3_i32 v25, v25, 0, 13
	v_add_nc_u32_e32 v22, 0xfffffc10, v22
	s_delay_alu instid0(VALU_DEP_4) | instskip(SKIP_3) | instid1(VALU_DEP_2)
	v_and_or_b32 v5, 0xffe, v5, v1
	s_wait_alu 0xfffd
	v_cndmask_b32_e64 v1, 0, 1, vcc_lo
	v_cmp_gt_i32_e32 vcc_lo, 31, v18
	v_lshl_or_b32 v23, v1, 9, 0x7c00
	s_wait_alu 0xfffd
	v_cndmask_b32_e32 v16, 0x7c00, v16, vcc_lo
	v_cmp_eq_u32_e32 vcc_lo, 0x40f, v18
	v_and_or_b32 v13, 0x1ff, v14, v13
	v_bfe_u32 v26, v14, 20, 11
	s_wait_alu 0xfffd
	v_cndmask_b32_e32 v18, v16, v23, vcc_lo
	s_or_b32 vcc_lo, s2, s1
	s_wait_alu 0xfffe
	v_add_co_ci_u32_e32 v15, vcc_lo, 0, v15, vcc_lo
	v_cmp_ne_u32_e32 vcc_lo, 0, v11
	s_wait_alu 0xfffd
	v_cndmask_b32_e64 v11, 0, 1, vcc_lo
	v_cmp_gt_i32_e32 vcc_lo, 31, v20
	s_delay_alu instid0(VALU_DEP_2) | instskip(SKIP_3) | instid1(VALU_DEP_2)
	v_lshl_or_b32 v11, v11, 9, 0x7c00
	s_wait_loadcnt 0x1
	v_mul_f16_e32 v21, v24, v17
	v_mul_f16_e32 v24, v24, v0
	v_fmac_f16_e32 v21, v27, v0
	s_delay_alu instid0(VALU_DEP_2)
	v_fma_f16 v16, v27, v17, -v24
	v_lshrrev_b32_e32 v17, 16, v19
	s_wait_alu 0xfffd
	v_cndmask_b32_e32 v19, 0x7c00, v15, vcc_lo
	v_cmp_ne_u32_e32 vcc_lo, 0, v13
	v_cvt_f32_f16_e32 v21, v21
	scratch_load_b32 v27, off, off offset:20 th:TH_LOAD_LU ; 4-byte Folded Reload
	v_cvt_f32_f16_e32 v15, v16
	s_wait_alu 0xfffd
	v_cndmask_b32_e64 v13, 0, 1, vcc_lo
	v_cvt_f64_f32_e32 v[0:1], v21
	v_or_b32_e32 v21, 0x1000, v5
	v_cvt_f64_f32_e32 v[15:16], v15
	s_delay_alu instid0(VALU_DEP_2) | instskip(NEXT) | instid1(VALU_DEP_1)
	v_lshrrev_b32_e32 v23, v25, v21
	v_lshlrev_b32_e32 v24, v25, v23
	v_lshrrev_b32_e32 v25, 8, v14
	v_lshrrev_b32_e32 v14, 16, v14
	s_delay_alu instid0(VALU_DEP_3) | instskip(NEXT) | instid1(VALU_DEP_3)
	v_cmp_ne_u32_e32 vcc_lo, v24, v21
	v_and_or_b32 v13, 0xffe, v25, v13
	v_sub_nc_u32_e32 v24, 0x3f1, v26
	v_lshrrev_b32_e32 v25, 16, v12
	s_wait_alu 0xfffd
	v_cndmask_b32_e64 v21, 0, 1, vcc_lo
	v_cmp_eq_u32_e32 vcc_lo, 0x40f, v20
	v_med3_i32 v24, v24, 0, 13
	s_delay_alu instid0(VALU_DEP_3)
	v_or_b32_e32 v20, v23, v21
	s_wait_alu 0xfffd
	v_cndmask_b32_e32 v19, v19, v11, vcc_lo
	v_lshl_or_b32 v21, v22, 12, v5
	v_cmp_gt_i32_e32 vcc_lo, 1, v22
	v_or_b32_e32 v23, 0x1000, v13
	s_delay_alu instid0(VALU_DEP_4)
	v_and_or_b32 v9, 0x8000, v25, v19
	v_mul_f64_e32 v[11:12], s[10:11], v[0:1]
	s_wait_alu 0xfffd
	v_cndmask_b32_e32 v1, v21, v20, vcc_lo
	v_add_nc_u32_e32 v21, 0xfffffc10, v26
	scratch_load_b32 v26, off, off offset:16 th:TH_LOAD_LU ; 4-byte Folded Reload
	v_and_or_b32 v0, 0x8000, v17, v18
	v_lshrrev_b32_e32 v17, v24, v23
	v_and_b32_e32 v18, 7, v1
	v_lshrrev_b32_e32 v20, 16, v10
	v_add_co_u32 v3, vcc_lo, v3, s12
	s_delay_alu instid0(VALU_DEP_4)
	v_lshlrev_b32_e32 v19, v24, v17
	s_wait_alu 0xfffd
	v_add_co_ci_u32_e32 v4, vcc_lo, s13, v4, vcc_lo
	v_cmp_lt_i32_e32 vcc_lo, 5, v18
	v_cmp_eq_u32_e64 s0, 3, v18
	v_cmp_ne_u32_e64 s1, v19, v23
	v_lshrrev_b32_e32 v1, 2, v1
	v_mul_f64_e32 v[15:16], s[10:11], v[15:16]
	v_and_b32_e32 v0, 0xffff, v0
	s_or_b32 vcc_lo, s0, vcc_lo
	v_cndmask_b32_e64 v19, 0, 1, s1
	s_wait_alu 0xfffe
	v_add_co_ci_u32_e32 v1, vcc_lo, 0, v1, vcc_lo
	v_cmp_ne_u32_e32 vcc_lo, 0, v5
	v_lshl_or_b32 v23, v21, 12, v13
	v_or_b32_e32 v19, v17, v19
	v_lshl_or_b32 v24, v9, 16, v0
	s_wait_alu 0xfffd
	v_cndmask_b32_e64 v5, 0, 1, vcc_lo
	v_cmp_gt_i32_e32 vcc_lo, 1, v21
	s_delay_alu instid0(VALU_DEP_2) | instskip(SKIP_4) | instid1(VALU_DEP_3)
	v_lshl_or_b32 v5, v5, 9, 0x7c00
	s_wait_alu 0xfffd
	v_cndmask_b32_e32 v9, v23, v19, vcc_lo
	v_cmp_gt_i32_e32 vcc_lo, 31, v22
	v_and_or_b32 v11, 0x1ff, v12, v11
	v_and_b32_e32 v23, 7, v9
	s_wait_alu 0xfffd
	v_cndmask_b32_e32 v19, 0x7c00, v1, vcc_lo
	v_add_co_u32 v0, vcc_lo, v3, s12
	s_wait_alu 0xfffd
	v_add_co_ci_u32_e32 v1, vcc_lo, s13, v4, vcc_lo
	v_cmp_eq_u32_e32 vcc_lo, 0x40f, v22
	v_cmp_ne_u32_e64 s0, 0, v11
	v_lshrrev_b32_e32 v11, 8, v12
	v_bfe_u32 v22, v12, 20, 11
	global_store_b32 v[3:4], v7, off
	global_store_b32 v[0:1], v24, off
	s_wait_alu 0xfffd
	v_cndmask_b32_e32 v19, v19, v5, vcc_lo
	v_cmp_lt_i32_e32 vcc_lo, 5, v23
	s_wait_alu 0xf1ff
	v_cndmask_b32_e64 v5, 0, 1, s0
	v_cmp_eq_u32_e64 s0, 3, v23
	v_lshrrev_b32_e32 v23, 16, v6
	v_lshrrev_b32_e32 v6, 2, v9
	scratch_load_b32 v24, off, off th:TH_LOAD_LU ; 4-byte Folded Reload
	v_and_or_b32 v11, 0xffe, v11, v5
	s_or_b32 vcc_lo, s0, vcc_lo
	v_sub_nc_u32_e32 v5, 0x3f1, v22
	s_wait_alu 0xfffe
	v_add_co_ci_u32_e32 v6, vcc_lo, 0, v6, vcc_lo
	v_cmp_ne_u32_e32 vcc_lo, 0, v13
	v_or_b32_e32 v25, 0x1000, v11
	v_med3_i32 v5, v5, 0, 13
	v_and_or_b32 v13, 0x1ff, v16, v15
	v_add_nc_u32_e32 v22, 0xfffffc10, v22
	v_and_or_b32 v19, 0x8000, v23, v19
	v_lshrrev_b32_e32 v12, 16, v12
	v_lshrrev_b32_e32 v15, v5, v25
	s_delay_alu instid0(VALU_DEP_3)
	v_and_b32_e32 v19, 0xffff, v19
	s_wait_loadcnt 0x2
	v_mul_f16_e32 v18, v27, v20
	v_mul_f16_e32 v9, v27, v10
	v_lshlrev_b32_e32 v27, v5, v15
	s_wait_loadcnt 0x1
	s_delay_alu instid0(VALU_DEP_3)
	v_fmac_f16_e32 v18, v26, v10
	s_wait_alu 0xfffd
	v_cndmask_b32_e64 v10, 0, 1, vcc_lo
	v_cmp_gt_i32_e32 vcc_lo, 31, v21
	v_fma_f16 v9, v26, v20, -v9
	v_cvt_f32_f16_e32 v17, v18
	s_delay_alu instid0(VALU_DEP_4)
	v_lshl_or_b32 v26, v10, 9, 0x7c00
	s_wait_alu 0xfffd
	v_cndmask_b32_e32 v20, 0x7c00, v6, vcc_lo
	v_cmp_ne_u32_e32 vcc_lo, 0, v13
	v_cvt_f32_f16_e32 v9, v9
	v_cvt_f64_f32_e32 v[17:18], v17
	s_wait_alu 0xfffd
	v_cndmask_b32_e64 v13, 0, 1, vcc_lo
	v_cmp_eq_u32_e32 vcc_lo, 0x40f, v21
	v_cvt_f64_f32_e32 v[9:10], v9
	s_wait_alu 0xfffd
	v_cndmask_b32_e32 v20, v20, v26, vcc_lo
	v_cmp_ne_u32_e32 vcc_lo, v27, v25
	v_lshrrev_b32_e32 v26, 16, v2
	s_delay_alu instid0(VALU_DEP_3) | instskip(SKIP_3) | instid1(VALU_DEP_3)
	v_and_or_b32 v14, 0x8000, v14, v20
	s_wait_alu 0xfffd
	v_cndmask_b32_e64 v21, 0, 1, vcc_lo
	v_cmp_gt_i32_e32 vcc_lo, 1, v22
	v_lshl_or_b32 v3, v14, 16, v19
	s_delay_alu instid0(VALU_DEP_3) | instskip(SKIP_2) | instid1(VALU_DEP_1)
	v_or_b32_e32 v15, v15, v21
	v_lshl_or_b32 v21, v22, 12, v11
	s_wait_alu 0xfffd
	v_cndmask_b32_e32 v15, v21, v15, vcc_lo
	v_mul_f16_e32 v21, v29, v26
	s_delay_alu instid0(VALU_DEP_2) | instskip(NEXT) | instid1(VALU_DEP_2)
	v_and_b32_e32 v20, 7, v15
	v_fmac_f16_e32 v21, v28, v2
	v_lshrrev_b32_e32 v15, 2, v15
	v_mul_f16_e32 v2, v29, v2
	s_delay_alu instid0(VALU_DEP_4) | instskip(NEXT) | instid1(VALU_DEP_4)
	v_cmp_lt_i32_e32 vcc_lo, 5, v20
	v_cvt_f32_f16_e32 v4, v21
	v_mul_f64_e32 v[5:6], s[10:11], v[17:18]
	v_lshrrev_b32_e32 v17, 8, v16
	v_bfe_u32 v18, v16, 20, 11
	v_fma_f16 v2, v28, v26, -v2
	v_lshrrev_b32_e32 v16, 16, v16
	s_delay_alu instid0(VALU_DEP_4) | instskip(NEXT) | instid1(VALU_DEP_4)
	v_and_or_b32 v17, 0xffe, v17, v13
	v_sub_nc_u32_e32 v13, 0x3f1, v18
	v_add_nc_u32_e32 v18, 0xfffffc10, v18
	v_cvt_f32_f16_e32 v2, v2
	s_delay_alu instid0(VALU_DEP_4) | instskip(NEXT) | instid1(VALU_DEP_4)
	v_or_b32_e32 v25, 0x1000, v17
	v_med3_i32 v13, v13, 0, 13
	s_delay_alu instid0(VALU_DEP_1) | instskip(NEXT) | instid1(VALU_DEP_1)
	v_lshrrev_b32_e32 v27, v13, v25
	v_lshlrev_b32_e32 v13, v13, v27
	s_delay_alu instid0(VALU_DEP_1)
	v_cmp_ne_u32_e64 s0, v13, v25
	scratch_load_b32 v25, off, off offset:4 th:TH_LOAD_LU ; 4-byte Folded Reload
	v_cvt_f64_f32_e32 v[13:14], v4
	s_wait_alu 0xf1ff
	v_cndmask_b32_e64 v7, 0, 1, s0
	v_cmp_eq_u32_e64 s0, 3, v20
	v_lshl_or_b32 v20, v18, 12, v17
	s_delay_alu instid0(VALU_DEP_3) | instskip(SKIP_1) | instid1(VALU_DEP_4)
	v_or_b32_e32 v7, v27, v7
	v_and_or_b32 v19, 0x1ff, v6, v5
	s_or_b32 vcc_lo, s0, vcc_lo
	v_mul_f64_e32 v[4:5], s[10:11], v[9:10]
	s_wait_alu 0xfffe
	v_add_co_ci_u32_e32 v15, vcc_lo, 0, v15, vcc_lo
	v_cmp_ne_u32_e64 s1, 0, v19
	v_cmp_gt_i32_e32 vcc_lo, 1, v18
	v_lshrrev_b32_e32 v10, 8, v6
	v_bfe_u32 v19, v6, 20, 11
	s_wait_alu 0xf1ff
	v_cndmask_b32_e64 v9, 0, 1, s1
	s_wait_alu 0xfffd
	v_cndmask_b32_e32 v7, v20, v7, vcc_lo
	v_cmp_ne_u32_e32 vcc_lo, 0, v11
	v_cmp_eq_u32_e64 s1, 0x40f, v22
	v_and_or_b32 v20, 0xffe, v10, v9
	v_sub_nc_u32_e32 v9, 0x3f1, v19
	s_wait_alu 0xfffd
	v_cndmask_b32_e64 v10, 0, 1, vcc_lo
	v_and_b32_e32 v11, 7, v7
	v_cmp_gt_i32_e32 vcc_lo, 31, v22
	v_or_b32_e32 v21, 0x1000, v20
	v_med3_i32 v9, v9, 0, 13
	v_lshrrev_b32_e32 v7, 2, v7
	v_cmp_eq_u32_e64 s0, 3, v11
	s_wait_alu 0xfffd
	v_cndmask_b32_e32 v15, 0x7c00, v15, vcc_lo
	v_cmp_lt_i32_e32 vcc_lo, 5, v11
	v_lshl_or_b32 v10, v10, 9, 0x7c00
	v_lshrrev_b32_e32 v23, v9, v21
	s_or_b32 vcc_lo, s0, vcc_lo
	s_delay_alu instid0(VALU_DEP_2)
	v_cndmask_b32_e64 v11, v15, v10, s1
	s_wait_alu 0xfffe
	v_add_co_ci_u32_e32 v7, vcc_lo, 0, v7, vcc_lo
	v_lshlrev_b32_e32 v15, v9, v23
	v_cmp_ne_u32_e32 vcc_lo, 0, v17
	v_mul_f64_e32 v[9:10], s[10:11], v[13:14]
	s_wait_alu 0xfffd
	v_cndmask_b32_e64 v17, 0, 1, vcc_lo
	v_cmp_ne_u32_e32 vcc_lo, v15, v21
	v_add_nc_u32_e32 v15, 0xfffffc10, v19
	v_and_or_b32 v4, 0x1ff, v5, v4
	v_and_or_b32 v19, 0x8000, v12, v11
	v_lshl_or_b32 v14, v17, 9, 0x7c00
	s_wait_alu 0xfffd
	v_cndmask_b32_e64 v13, 0, 1, vcc_lo
	v_cmp_gt_i32_e32 vcc_lo, 31, v18
	v_lshl_or_b32 v17, v15, 12, v20
	v_cvt_f64_f32_e32 v[11:12], v2
	v_lshrrev_b32_e32 v21, 16, v8
	v_or_b32_e32 v13, v23, v13
	s_wait_alu 0xfffd
	v_cndmask_b32_e32 v7, 0x7c00, v7, vcc_lo
	v_cmp_gt_i32_e32 vcc_lo, 1, v15
	v_bfe_u32 v2, v5, 20, 11
	v_and_b32_e32 v19, 0xffff, v19
	s_wait_alu 0xfffd
	v_cndmask_b32_e32 v13, v17, v13, vcc_lo
	v_cmp_ne_u32_e32 vcc_lo, 0, v4
	v_lshrrev_b32_e32 v17, 8, v5
	s_wait_alu 0xfffd
	v_cndmask_b32_e64 v4, 0, 1, vcc_lo
	v_cmp_eq_u32_e32 vcc_lo, 0x40f, v18
	s_delay_alu instid0(VALU_DEP_2)
	v_and_or_b32 v4, 0xffe, v17, v4
	s_wait_alu 0xfffd
	v_dual_cndmask_b32 v7, v7, v14 :: v_dual_and_b32 v14, 7, v13
	v_sub_nc_u32_e32 v17, 0x3f1, v2
	v_add_nc_u32_e32 v2, 0xfffffc10, v2
	v_or_b32_e32 v22, 0x1000, v4
	s_delay_alu instid0(VALU_DEP_4)
	v_and_or_b32 v16, 0x8000, v16, v7
	v_cmp_lt_i32_e32 vcc_lo, 5, v14
	v_cmp_eq_u32_e64 s0, 3, v14
	v_lshrrev_b32_e32 v7, 2, v13
	v_med3_i32 v17, v17, 0, 13
	v_and_or_b32 v9, 0x1ff, v10, v9
	v_lshl_or_b32 v16, v16, 16, v19
	s_or_b32 vcc_lo, s0, vcc_lo
	s_delay_alu instid0(VALU_DEP_3) | instskip(SKIP_2) | instid1(VALU_DEP_1)
	v_lshrrev_b32_e32 v23, v17, v22
	s_wait_loadcnt 0x0
	v_mul_f16_e32 v18, v25, v21
	v_fmac_f16_e32 v18, v24, v8
	v_mul_f16_e32 v8, v25, v8
	s_delay_alu instid0(VALU_DEP_2)
	v_cvt_f32_f16_e32 v13, v18
	s_wait_alu 0xfffe
	v_add_co_ci_u32_e32 v18, vcc_lo, 0, v7, vcc_lo
	v_cmp_ne_u32_e32 vcc_lo, 0, v20
	v_lshlrev_b32_e32 v7, v17, v23
	v_cvt_f64_f32_e32 v[13:14], v13
	v_lshrrev_b32_e32 v20, 8, v10
	v_fma_f16 v8, v24, v21, -v8
	s_wait_alu 0xfffd
	v_cndmask_b32_e64 v17, 0, 1, vcc_lo
	v_cmp_ne_u32_e32 vcc_lo, 0, v9
	s_delay_alu instid0(VALU_DEP_2)
	v_lshl_or_b32 v17, v17, 9, 0x7c00
	s_wait_alu 0xfffd
	v_cndmask_b32_e64 v9, 0, 1, vcc_lo
	v_cmp_ne_u32_e32 vcc_lo, v7, v22
	v_bfe_u32 v22, v10, 20, 11
	v_lshrrev_b32_e32 v10, 16, v10
	s_delay_alu instid0(VALU_DEP_4)
	v_and_or_b32 v9, 0xffe, v20, v9
	v_cvt_f32_f16_e32 v20, v8
	s_wait_alu 0xfffd
	v_cndmask_b32_e64 v21, 0, 1, vcc_lo
	v_mul_f64_e32 v[7:8], s[10:11], v[11:12]
	v_sub_nc_u32_e32 v24, 0x3f1, v22
	v_cmp_gt_i32_e32 vcc_lo, 31, v15
	v_cvt_f64_f32_e32 v[11:12], v20
	v_or_b32_e32 v21, v23, v21
	v_lshl_or_b32 v23, v2, 12, v4
	v_or_b32_e32 v20, 0x1000, v9
	v_med3_i32 v24, v24, 0, 13
	s_wait_alu 0xfffd
	v_cndmask_b32_e32 v18, 0x7c00, v18, vcc_lo
	v_cmp_gt_i32_e32 vcc_lo, 1, v2
	v_add_nc_u32_e32 v19, 0xfffffc10, v22
	v_lshrrev_b32_e32 v25, v24, v20
	s_wait_alu 0xfffd
	v_cndmask_b32_e32 v21, v23, v21, vcc_lo
	v_add_co_u32 v0, vcc_lo, v0, s12
	s_wait_alu 0xfffd
	v_add_co_ci_u32_e32 v1, vcc_lo, s13, v1, vcc_lo
	v_lshlrev_b32_e32 v23, v24, v25
	v_and_b32_e32 v24, 7, v21
	v_cmp_eq_u32_e32 vcc_lo, 0x40f, v15
	v_mul_f64_e32 v[13:14], s[10:11], v[13:14]
	s_delay_alu instid0(VALU_DEP_4) | instskip(NEXT) | instid1(VALU_DEP_4)
	v_cmp_ne_u32_e64 s1, v23, v20
	v_cmp_eq_u32_e64 s0, 3, v24
	s_wait_alu 0xfffd
	v_cndmask_b32_e32 v15, v18, v17, vcc_lo
	v_cmp_lt_i32_e32 vcc_lo, 5, v24
	v_lshrrev_b32_e32 v17, 16, v6
	v_lshrrev_b32_e32 v6, 2, v21
	s_wait_alu 0xf1ff
	v_cndmask_b32_e64 v18, 0, 1, s1
	v_lshl_or_b32 v20, v19, 12, v9
	s_or_b32 vcc_lo, s0, vcc_lo
	v_and_or_b32 v15, 0x8000, v17, v15
	s_wait_alu 0xfffe
	v_add_co_ci_u32_e32 v6, vcc_lo, 0, v6, vcc_lo
	v_cmp_ne_u32_e32 vcc_lo, 0, v4
	v_or_b32_e32 v18, v25, v18
	v_and_or_b32 v22, 0x1ff, v8, v7
	v_bfe_u32 v23, v8, 20, 11
	v_and_b32_e32 v15, 0xffff, v15
	s_wait_alu 0xfffd
	v_cndmask_b32_e64 v4, 0, 1, vcc_lo
	v_cmp_gt_i32_e32 vcc_lo, 31, v2
	s_delay_alu instid0(VALU_DEP_2)
	v_lshl_or_b32 v4, v4, 9, 0x7c00
	s_wait_alu 0xfffd
	v_cndmask_b32_e32 v21, 0x7c00, v6, vcc_lo
	v_mul_f64_e32 v[6:7], s[10:11], v[11:12]
	v_add_co_u32 v11, vcc_lo, v0, s12
	s_wait_alu 0xfffd
	v_add_co_ci_u32_e32 v12, vcc_lo, s13, v1, vcc_lo
	v_cmp_gt_i32_e32 vcc_lo, 1, v19
	s_wait_alu 0xfffd
	v_cndmask_b32_e32 v18, v20, v18, vcc_lo
	v_cmp_ne_u32_e32 vcc_lo, 0, v22
	v_lshrrev_b32_e32 v22, 8, v8
	v_lshrrev_b32_e32 v8, 16, v8
	s_wait_alu 0xfffd
	v_cndmask_b32_e64 v20, 0, 1, vcc_lo
	v_cmp_eq_u32_e32 vcc_lo, 0x40f, v2
	s_delay_alu instid0(VALU_DEP_2)
	v_and_or_b32 v20, 0xffe, v22, v20
	s_wait_alu 0xfffd
	v_cndmask_b32_e32 v2, v21, v4, vcc_lo
	v_lshrrev_b32_e32 v4, 16, v5
	v_and_b32_e32 v5, 7, v18
	v_sub_nc_u32_e32 v21, 0x3f1, v23
	v_bfe_u32 v22, v14, 20, 11
	s_delay_alu instid0(VALU_DEP_4) | instskip(NEXT) | instid1(VALU_DEP_4)
	v_and_or_b32 v2, 0x8000, v4, v2
	v_cmp_lt_i32_e32 vcc_lo, 5, v5
	v_cmp_eq_u32_e64 s0, 3, v5
	v_and_or_b32 v5, 0x1ff, v14, v13
	v_lshrrev_b32_e32 v13, 2, v18
	v_or_b32_e32 v4, 0x1000, v20
	v_med3_i32 v17, v21, 0, 13
	s_or_b32 vcc_lo, s0, vcc_lo
	v_lshrrev_b32_e32 v21, 8, v14
	s_wait_alu 0xfffe
	v_add_co_ci_u32_e32 v13, vcc_lo, 0, v13, vcc_lo
	v_lshrrev_b32_e32 v18, v17, v4
	v_cmp_ne_u32_e32 vcc_lo, 0, v5
	v_and_or_b32 v6, 0x1ff, v7, v6
	v_lshrrev_b32_e32 v24, 8, v7
	v_bfe_u32 v25, v7, 20, 11
	v_lshlrev_b32_e32 v17, v17, v18
	s_wait_alu 0xfffd
	v_cndmask_b32_e64 v5, 0, 1, vcc_lo
	v_cmp_ne_u32_e32 vcc_lo, 0, v9
	v_lshrrev_b32_e32 v7, 16, v7
	v_lshl_or_b32 v2, v2, 16, v15
	s_delay_alu instid0(VALU_DEP_4)
	v_and_or_b32 v5, 0xffe, v21, v5
	s_wait_alu 0xfffd
	v_cndmask_b32_e64 v9, 0, 1, vcc_lo
	v_cmp_ne_u32_e32 vcc_lo, v17, v4
	v_sub_nc_u32_e32 v21, 0x3f1, v22
	v_add_nc_u32_e32 v17, 0xfffffc10, v23
	v_or_b32_e32 v23, 0x1000, v5
	v_lshl_or_b32 v9, v9, 9, 0x7c00
	s_wait_alu 0xfffd
	v_cndmask_b32_e64 v4, 0, 1, vcc_lo
	v_cmp_gt_i32_e32 vcc_lo, 31, v19
	v_med3_i32 v21, v21, 0, 13
	s_delay_alu instid0(VALU_DEP_3)
	v_or_b32_e32 v4, v18, v4
	s_wait_alu 0xfffd
	v_cndmask_b32_e32 v13, 0x7c00, v13, vcc_lo
	v_cmp_ne_u32_e32 vcc_lo, 0, v6
	v_lshl_or_b32 v18, v17, 12, v20
	v_lshrrev_b32_e32 v26, v21, v23
	s_wait_alu 0xfffd
	v_cndmask_b32_e64 v6, 0, 1, vcc_lo
	v_cmp_gt_i32_e32 vcc_lo, 1, v17
	s_delay_alu instid0(VALU_DEP_2)
	v_and_or_b32 v6, 0xffe, v24, v6
	v_sub_nc_u32_e32 v24, 0x3f1, v25
	s_wait_alu 0xfffd
	v_cndmask_b32_e32 v4, v18, v4, vcc_lo
	v_lshlrev_b32_e32 v18, v21, v26
	v_cmp_eq_u32_e32 vcc_lo, 0x40f, v19
	v_or_b32_e32 v21, 0x1000, v6
	v_med3_i32 v24, v24, 0, 13
	v_and_b32_e32 v27, 7, v4
	v_lshrrev_b32_e32 v4, 2, v4
	s_wait_alu 0xfffd
	v_cndmask_b32_e32 v9, v13, v9, vcc_lo
	v_cmp_ne_u32_e32 vcc_lo, v18, v23
	v_add_nc_u32_e32 v18, 0xfffffc10, v22
	v_lshrrev_b32_e32 v19, v24, v21
	v_cmp_eq_u32_e64 s0, 3, v27
	v_and_or_b32 v9, 0x8000, v10, v9
	s_wait_alu 0xfffd
	v_cndmask_b32_e64 v13, 0, 1, vcc_lo
	v_lshl_or_b32 v22, v18, 12, v5
	v_lshlrev_b32_e32 v23, v24, v19
	v_cmp_gt_i32_e64 s1, 1, v18
	v_cmp_lt_i32_e32 vcc_lo, 5, v27
	v_or_b32_e32 v13, v26, v13
	v_and_b32_e32 v9, 0xffff, v9
	s_or_b32 vcc_lo, s0, vcc_lo
	s_delay_alu instid0(VALU_DEP_2)
	v_cndmask_b32_e64 v13, v22, v13, s1
	v_cmp_ne_u32_e64 s1, v23, v21
	v_add_nc_u32_e32 v22, 0xfffffc10, v25
	s_wait_alu 0xfffe
	v_add_co_ci_u32_e32 v4, vcc_lo, 0, v4, vcc_lo
	v_and_b32_e32 v23, 7, v13
	s_wait_alu 0xf1ff
	v_cndmask_b32_e64 v21, 0, 1, s1
	v_cmp_ne_u32_e32 vcc_lo, 0, v20
	v_cmp_gt_i32_e64 s0, 1, v22
	v_lshrrev_b32_e32 v13, 2, v13
	v_cmp_gt_i32_e64 s1, 31, v17
	v_or_b32_e32 v19, v19, v21
	v_lshl_or_b32 v21, v22, 12, v6
	s_wait_alu 0xfffd
	v_cndmask_b32_e64 v20, 0, 1, vcc_lo
	v_cmp_lt_i32_e32 vcc_lo, 5, v23
	s_wait_alu 0xf1ff
	v_cndmask_b32_e64 v4, 0x7c00, v4, s1
	v_cmp_eq_u32_e64 s1, 0x40f, v17
	v_cndmask_b32_e64 v10, v21, v19, s0
	v_cmp_eq_u32_e64 s0, 3, v23
	v_lshl_or_b32 v19, v20, 9, 0x7c00
	s_delay_alu instid0(VALU_DEP_3) | instskip(NEXT) | instid1(VALU_DEP_3)
	v_and_b32_e32 v20, 7, v10
	s_or_b32 vcc_lo, s0, vcc_lo
	v_lshrrev_b32_e32 v10, 2, v10
	s_wait_alu 0xfffe
	v_add_co_ci_u32_e32 v13, vcc_lo, 0, v13, vcc_lo
	v_cmp_ne_u32_e32 vcc_lo, 0, v5
	v_cmp_eq_u32_e64 s0, 3, v20
	v_cndmask_b32_e64 v4, v4, v19, s1
	v_cmp_gt_i32_e64 s1, 31, v18
	s_wait_alu 0xfffd
	v_cndmask_b32_e64 v5, 0, 1, vcc_lo
	v_cmp_lt_i32_e32 vcc_lo, 5, v20
	v_and_or_b32 v8, 0x8000, v8, v4
	s_wait_alu 0xf1ff
	v_cndmask_b32_e64 v13, 0x7c00, v13, s1
	v_lshl_or_b32 v5, v5, 9, 0x7c00
	s_or_b32 vcc_lo, s0, vcc_lo
	s_wait_alu 0xfffe
	v_add_co_ci_u32_e32 v10, vcc_lo, 0, v10, vcc_lo
	v_cmp_ne_u32_e32 vcc_lo, 0, v6
	s_wait_alu 0xfffd
	v_cndmask_b32_e64 v6, 0, 1, vcc_lo
	v_cmp_eq_u32_e32 vcc_lo, 0x40f, v18
	s_delay_alu instid0(VALU_DEP_2)
	v_lshl_or_b32 v6, v6, 9, 0x7c00
	s_wait_alu 0xfffd
	v_cndmask_b32_e32 v5, v13, v5, vcc_lo
	v_cmp_gt_i32_e32 vcc_lo, 31, v22
	v_lshrrev_b32_e32 v13, 16, v14
	s_wait_alu 0xfffd
	v_cndmask_b32_e32 v10, 0x7c00, v10, vcc_lo
	v_cmp_eq_u32_e32 vcc_lo, 0x40f, v22
	s_delay_alu instid0(VALU_DEP_3) | instskip(SKIP_1) | instid1(VALU_DEP_3)
	v_and_or_b32 v13, 0x8000, v13, v5
	s_wait_alu 0xfffd
	v_cndmask_b32_e32 v6, v10, v6, vcc_lo
	v_add_co_u32 v4, vcc_lo, v11, s12
	s_wait_alu 0xfffd
	v_add_co_ci_u32_e32 v5, vcc_lo, s13, v12, vcc_lo
	v_lshl_or_b32 v10, v8, 16, v9
	v_and_or_b32 v8, 0x8000, v7, v6
	v_and_b32_e32 v9, 0xffff, v13
	v_add_co_u32 v6, vcc_lo, v4, s12
	s_wait_alu 0xfffd
	v_add_co_ci_u32_e32 v7, vcc_lo, s13, v5, vcc_lo
	s_delay_alu instid0(VALU_DEP_3) | instskip(NEXT) | instid1(VALU_DEP_3)
	v_lshl_or_b32 v13, v8, 16, v9
	v_add_co_u32 v8, vcc_lo, v6, s12
	s_wait_alu 0xfffd
	s_delay_alu instid0(VALU_DEP_3)
	v_add_co_ci_u32_e32 v9, vcc_lo, s13, v7, vcc_lo
	global_store_b32 v[0:1], v3, off
	global_store_b32 v[11:12], v16, off
	;; [unrolled: 1-line block ×5, first 2 shown]
.LBB0_2:
	s_nop 0
	s_sendmsg sendmsg(MSG_DEALLOC_VGPRS)
	s_endpgm
	.section	.rodata,"a",@progbits
	.p2align	6, 0x0
	.amdhsa_kernel bluestein_single_fwd_len2430_dim1_half_op_CI_CI
		.amdhsa_group_segment_fixed_size 9720
		.amdhsa_private_segment_fixed_size 376
		.amdhsa_kernarg_size 104
		.amdhsa_user_sgpr_count 2
		.amdhsa_user_sgpr_dispatch_ptr 0
		.amdhsa_user_sgpr_queue_ptr 0
		.amdhsa_user_sgpr_kernarg_segment_ptr 1
		.amdhsa_user_sgpr_dispatch_id 0
		.amdhsa_user_sgpr_private_segment_size 0
		.amdhsa_wavefront_size32 1
		.amdhsa_uses_dynamic_stack 0
		.amdhsa_enable_private_segment 1
		.amdhsa_system_sgpr_workgroup_id_x 1
		.amdhsa_system_sgpr_workgroup_id_y 0
		.amdhsa_system_sgpr_workgroup_id_z 0
		.amdhsa_system_sgpr_workgroup_info 0
		.amdhsa_system_vgpr_workitem_id 0
		.amdhsa_next_free_vgpr 256
		.amdhsa_next_free_sgpr 20
		.amdhsa_reserve_vcc 1
		.amdhsa_float_round_mode_32 0
		.amdhsa_float_round_mode_16_64 0
		.amdhsa_float_denorm_mode_32 3
		.amdhsa_float_denorm_mode_16_64 3
		.amdhsa_fp16_overflow 0
		.amdhsa_workgroup_processor_mode 1
		.amdhsa_memory_ordered 1
		.amdhsa_forward_progress 0
		.amdhsa_round_robin_scheduling 0
		.amdhsa_exception_fp_ieee_invalid_op 0
		.amdhsa_exception_fp_denorm_src 0
		.amdhsa_exception_fp_ieee_div_zero 0
		.amdhsa_exception_fp_ieee_overflow 0
		.amdhsa_exception_fp_ieee_underflow 0
		.amdhsa_exception_fp_ieee_inexact 0
		.amdhsa_exception_int_div_zero 0
	.end_amdhsa_kernel
	.text
.Lfunc_end0:
	.size	bluestein_single_fwd_len2430_dim1_half_op_CI_CI, .Lfunc_end0-bluestein_single_fwd_len2430_dim1_half_op_CI_CI
                                        ; -- End function
	.section	.AMDGPU.csdata,"",@progbits
; Kernel info:
; codeLenInByte = 62600
; NumSgprs: 22
; NumVgprs: 256
; ScratchSize: 376
; MemoryBound: 0
; FloatMode: 240
; IeeeMode: 1
; LDSByteSize: 9720 bytes/workgroup (compile time only)
; SGPRBlocks: 2
; VGPRBlocks: 31
; NumSGPRsForWavesPerEU: 22
; NumVGPRsForWavesPerEU: 256
; Occupancy: 5
; WaveLimiterHint : 1
; COMPUTE_PGM_RSRC2:SCRATCH_EN: 1
; COMPUTE_PGM_RSRC2:USER_SGPR: 2
; COMPUTE_PGM_RSRC2:TRAP_HANDLER: 0
; COMPUTE_PGM_RSRC2:TGID_X_EN: 1
; COMPUTE_PGM_RSRC2:TGID_Y_EN: 0
; COMPUTE_PGM_RSRC2:TGID_Z_EN: 0
; COMPUTE_PGM_RSRC2:TIDIG_COMP_CNT: 0
	.text
	.p2alignl 7, 3214868480
	.fill 96, 4, 3214868480
	.type	__hip_cuid_64e788cf6b029a83,@object ; @__hip_cuid_64e788cf6b029a83
	.section	.bss,"aw",@nobits
	.globl	__hip_cuid_64e788cf6b029a83
__hip_cuid_64e788cf6b029a83:
	.byte	0                               ; 0x0
	.size	__hip_cuid_64e788cf6b029a83, 1

	.ident	"AMD clang version 19.0.0git (https://github.com/RadeonOpenCompute/llvm-project roc-6.4.0 25133 c7fe45cf4b819c5991fe208aaa96edf142730f1d)"
	.section	".note.GNU-stack","",@progbits
	.addrsig
	.addrsig_sym __hip_cuid_64e788cf6b029a83
	.amdgpu_metadata
---
amdhsa.kernels:
  - .args:
      - .actual_access:  read_only
        .address_space:  global
        .offset:         0
        .size:           8
        .value_kind:     global_buffer
      - .actual_access:  read_only
        .address_space:  global
        .offset:         8
        .size:           8
        .value_kind:     global_buffer
      - .actual_access:  read_only
        .address_space:  global
        .offset:         16
        .size:           8
        .value_kind:     global_buffer
      - .actual_access:  read_only
        .address_space:  global
        .offset:         24
        .size:           8
        .value_kind:     global_buffer
      - .actual_access:  read_only
        .address_space:  global
        .offset:         32
        .size:           8
        .value_kind:     global_buffer
      - .offset:         40
        .size:           8
        .value_kind:     by_value
      - .address_space:  global
        .offset:         48
        .size:           8
        .value_kind:     global_buffer
      - .address_space:  global
        .offset:         56
        .size:           8
        .value_kind:     global_buffer
      - .address_space:  global
        .offset:         64
        .size:           8
        .value_kind:     global_buffer
      - .address_space:  global
        .offset:         72
        .size:           8
        .value_kind:     global_buffer
      - .offset:         80
        .size:           4
        .value_kind:     by_value
      - .address_space:  global
        .offset:         88
        .size:           8
        .value_kind:     global_buffer
      - .address_space:  global
        .offset:         96
        .size:           8
        .value_kind:     global_buffer
    .group_segment_fixed_size: 9720
    .kernarg_segment_align: 8
    .kernarg_segment_size: 104
    .language:       OpenCL C
    .language_version:
      - 2
      - 0
    .max_flat_workgroup_size: 81
    .name:           bluestein_single_fwd_len2430_dim1_half_op_CI_CI
    .private_segment_fixed_size: 376
    .sgpr_count:     22
    .sgpr_spill_count: 0
    .symbol:         bluestein_single_fwd_len2430_dim1_half_op_CI_CI.kd
    .uniform_work_group_size: 1
    .uses_dynamic_stack: false
    .vgpr_count:     256
    .vgpr_spill_count: 93
    .wavefront_size: 32
    .workgroup_processor_mode: 1
amdhsa.target:   amdgcn-amd-amdhsa--gfx1201
amdhsa.version:
  - 1
  - 2
...

	.end_amdgpu_metadata
